;; amdgpu-corpus repo=zjin-lcf/HeCBench kind=compiled arch=gfx1201 opt=O3
	.amdgcn_target "amdgcn-amd-amdhsa--gfx1201"
	.amdhsa_code_object_version 6
	.text
	.protected	_Z11pnpoly_basePiPK15HIP_vector_typeIfLj2EES3_i ; -- Begin function _Z11pnpoly_basePiPK15HIP_vector_typeIfLj2EES3_i
	.globl	_Z11pnpoly_basePiPK15HIP_vector_typeIfLj2EES3_i
	.p2align	8
	.type	_Z11pnpoly_basePiPK15HIP_vector_typeIfLj2EES3_i,@function
_Z11pnpoly_basePiPK15HIP_vector_typeIfLj2EES3_i: ; @_Z11pnpoly_basePiPK15HIP_vector_typeIfLj2EES3_i
; %bb.0:
	s_clause 0x1
	s_load_b32 s2, s[0:1], 0x2c
	s_load_b32 s3, s[0:1], 0x18
	s_wait_kmcnt 0x0
	s_and_b32 s2, s2, 0xffff
	s_delay_alu instid0(SALU_CYCLE_1)
	v_mad_co_u64_u32 v[0:1], null, ttmp9, s2, v[0:1]
	s_mov_b32 s2, exec_lo
	v_cmpx_gt_i32_e64 s3, v0
	s_cbranch_execz .LBB0_16
; %bb.1:
	s_clause 0x1
	s_load_b128 s[4:7], s[0:1], 0x0
	s_load_b64 s[2:3], s[0:1], 0x10
	v_ashrrev_i32_e32 v1, 31, v0
	v_mov_b32_e32 v4, 0
	s_mov_b64 s[8:9], 0
	s_delay_alu instid0(VALU_DEP_2) | instskip(SKIP_1) | instid1(VALU_DEP_1)
	v_lshlrev_b64_e32 v[2:3], 3, v[0:1]
	s_wait_kmcnt 0x0
	v_add_co_u32 v2, vcc_lo, s6, v2
	s_delay_alu instid0(VALU_DEP_1)
	v_add_co_ci_u32_e64 v3, null, s7, v3, vcc_lo
	s_load_b32 s12, s[2:3], 0x12bc
	s_mov_b32 s7, 0
	s_movk_i32 s6, 0x257
	global_load_b64 v[2:3], v[2:3], off
	s_wait_alu 0xfffe
	s_mov_b32 s1, s7
	s_branch .LBB0_4
.LBB0_2:                                ;   in Loop: Header=BB0_4 Depth=1
	s_wait_alu 0xfffe
	s_or_b32 exec_lo, exec_lo, s6
.LBB0_3:                                ;   in Loop: Header=BB0_4 Depth=1
	s_wait_alu 0xfffe
	s_or_b32 exec_lo, exec_lo, s0
	s_add_nc_u64 s[8:9], s[8:9], 24
	s_add_co_i32 s6, s1, 2
	s_add_co_i32 s1, s1, 3
	s_cmp_eq_u32 s8, 0x12c0
	s_cbranch_scc1 .LBB0_15
.LBB0_4:                                ; =>This Inner Loop Header: Depth=1
	s_add_nc_u64 s[10:11], s[2:3], s[8:9]
	s_wait_loadcnt 0x0
	s_wait_kmcnt 0x0
	v_cmp_ngt_f32_e64 s0, s12, v3
	s_load_b32 s13, s[10:11], 0x4
	s_wait_kmcnt 0x0
	v_cmp_gt_f32_e32 vcc_lo, s13, v3
	s_xor_b32 s0, vcc_lo, s0
	s_wait_alu 0xfffe
	s_xor_b32 s14, s0, -1
	s_wait_alu 0xfffe
	s_and_saveexec_b32 s0, s14
	s_cbranch_execz .LBB0_8
; %bb.5:                                ;   in Loop: Header=BB0_4 Depth=1
	s_lshl_b64 s[14:15], s[6:7], 3
	s_sub_f32 s12, s12, s13
	s_wait_alu 0xfffe
	s_add_nc_u64 s[14:15], s[2:3], s[14:15]
	s_clause 0x1
	s_load_b32 s6, s[14:15], 0x0
	s_load_b32 s14, s[10:11], 0x0
	s_wait_kmcnt 0x0
	s_sub_f32 s6, s6, s14
	s_wait_alu 0xfffe
	s_delay_alu instid0(SALU_CYCLE_2) | instskip(SKIP_1) | instid1(VALU_DEP_2)
	v_div_scale_f32 v5, null, s12, s12, s6
	v_div_scale_f32 v8, vcc_lo, s6, s12, s6
	v_rcp_f32_e32 v6, v5
	v_xor_b32_e32 v5, 0x80000000, v5
	s_delay_alu instid0(TRANS32_DEP_1) | instid1(VALU_DEP_1)
	v_fma_f32 v7, v5, v6, 1.0
	s_delay_alu instid0(VALU_DEP_1) | instskip(NEXT) | instid1(VALU_DEP_1)
	v_fmac_f32_e32 v6, v7, v6
	v_mul_f32_e32 v7, v8, v6
	s_delay_alu instid0(VALU_DEP_1) | instskip(NEXT) | instid1(VALU_DEP_1)
	v_fma_f32 v9, v5, v7, v8
	v_fmac_f32_e32 v7, v9, v6
	s_delay_alu instid0(VALU_DEP_1) | instskip(SKIP_1) | instid1(VALU_DEP_1)
	v_fmac_f32_e32 v8, v5, v7
	s_wait_alu 0xfffd
	v_div_fmas_f32 v5, v8, v6, v7
	v_subrev_f32_e32 v6, s13, v3
	s_delay_alu instid0(VALU_DEP_2) | instskip(SKIP_1) | instid1(VALU_DEP_1)
	v_div_fixup_f32 v5, v5, s12, s6
	s_mov_b32 s6, exec_lo
	v_fma_f32 v5, v6, v5, s14
	s_delay_alu instid0(VALU_DEP_1)
	v_cmpx_lt_f32_e32 v2, v5
; %bb.6:                                ;   in Loop: Header=BB0_4 Depth=1
	v_cmp_eq_u32_e32 vcc_lo, 0, v4
	s_wait_alu 0xfffd
	v_cndmask_b32_e64 v4, 0, 1, vcc_lo
; %bb.7:                                ;   in Loop: Header=BB0_4 Depth=1
	s_wait_alu 0xfffe
	s_or_b32 exec_lo, exec_lo, s6
.LBB0_8:                                ;   in Loop: Header=BB0_4 Depth=1
	s_wait_alu 0xfffe
	s_or_b32 exec_lo, exec_lo, s0
	s_load_b32 s6, s[10:11], 0xc
	v_cmp_ngt_f32_e64 s0, s13, v3
	s_wait_kmcnt 0x0
	v_cmp_gt_f32_e32 vcc_lo, s6, v3
	s_xor_b32 s0, vcc_lo, s0
	s_wait_alu 0xfffe
	s_xor_b32 s12, s0, -1
	s_wait_alu 0xfffe
	s_and_saveexec_b32 s0, s12
	s_cbranch_execz .LBB0_12
; %bb.9:                                ;   in Loop: Header=BB0_4 Depth=1
	s_clause 0x1
	s_load_b32 s12, s[10:11], 0x0
	s_load_b32 s14, s[10:11], 0x8
	s_sub_f32 s13, s13, s6
	s_wait_kmcnt 0x0
	s_sub_f32 s12, s12, s14
	s_wait_alu 0xfffe
	s_delay_alu instid0(SALU_CYCLE_2) | instskip(SKIP_1) | instid1(VALU_DEP_2)
	v_div_scale_f32 v5, null, s13, s13, s12
	v_div_scale_f32 v8, vcc_lo, s12, s13, s12
	v_rcp_f32_e32 v6, v5
	v_xor_b32_e32 v5, 0x80000000, v5
	s_delay_alu instid0(TRANS32_DEP_1) | instid1(VALU_DEP_1)
	v_fma_f32 v7, v5, v6, 1.0
	s_delay_alu instid0(VALU_DEP_1) | instskip(NEXT) | instid1(VALU_DEP_1)
	v_fmac_f32_e32 v6, v7, v6
	v_mul_f32_e32 v7, v8, v6
	s_delay_alu instid0(VALU_DEP_1) | instskip(NEXT) | instid1(VALU_DEP_1)
	v_fma_f32 v9, v5, v7, v8
	v_fmac_f32_e32 v7, v9, v6
	s_delay_alu instid0(VALU_DEP_1) | instskip(SKIP_1) | instid1(VALU_DEP_1)
	v_fmac_f32_e32 v8, v5, v7
	s_wait_alu 0xfffd
	v_div_fmas_f32 v5, v8, v6, v7
	v_subrev_f32_e32 v6, s6, v3
	s_delay_alu instid0(VALU_DEP_2) | instskip(SKIP_1) | instid1(VALU_DEP_1)
	v_div_fixup_f32 v5, v5, s13, s12
	s_mov_b32 s12, exec_lo
	v_fma_f32 v5, v6, v5, s14
	s_delay_alu instid0(VALU_DEP_1)
	v_cmpx_lt_f32_e32 v2, v5
; %bb.10:                               ;   in Loop: Header=BB0_4 Depth=1
	v_cmp_eq_u32_e32 vcc_lo, 0, v4
	s_wait_alu 0xfffd
	v_cndmask_b32_e64 v4, 0, 1, vcc_lo
; %bb.11:                               ;   in Loop: Header=BB0_4 Depth=1
	s_wait_alu 0xfffe
	s_or_b32 exec_lo, exec_lo, s12
.LBB0_12:                               ;   in Loop: Header=BB0_4 Depth=1
	s_wait_alu 0xfffe
	s_or_b32 exec_lo, exec_lo, s0
	s_load_b32 s12, s[10:11], 0x14
	v_cmp_ngt_f32_e64 s0, s6, v3
	s_wait_kmcnt 0x0
	v_cmp_gt_f32_e32 vcc_lo, s12, v3
	s_xor_b32 s0, vcc_lo, s0
	s_wait_alu 0xfffe
	s_xor_b32 s13, s0, -1
	s_wait_alu 0xfffe
	s_and_saveexec_b32 s0, s13
	s_cbranch_execz .LBB0_3
; %bb.13:                               ;   in Loop: Header=BB0_4 Depth=1
	s_clause 0x1
	s_load_b32 s13, s[10:11], 0x8
	s_load_b32 s10, s[10:11], 0x10
	s_sub_f32 s6, s6, s12
	s_wait_kmcnt 0x0
	s_sub_f32 s11, s13, s10
	s_wait_alu 0xfffe
	s_delay_alu instid0(SALU_CYCLE_2) | instskip(SKIP_1) | instid1(VALU_DEP_2)
	v_div_scale_f32 v5, null, s6, s6, s11
	v_div_scale_f32 v8, vcc_lo, s11, s6, s11
	v_rcp_f32_e32 v6, v5
	v_xor_b32_e32 v5, 0x80000000, v5
	s_delay_alu instid0(TRANS32_DEP_1) | instid1(VALU_DEP_1)
	v_fma_f32 v7, v5, v6, 1.0
	s_delay_alu instid0(VALU_DEP_1) | instskip(NEXT) | instid1(VALU_DEP_1)
	v_fmac_f32_e32 v6, v7, v6
	v_mul_f32_e32 v7, v8, v6
	s_delay_alu instid0(VALU_DEP_1) | instskip(NEXT) | instid1(VALU_DEP_1)
	v_fma_f32 v9, v5, v7, v8
	v_fmac_f32_e32 v7, v9, v6
	s_delay_alu instid0(VALU_DEP_1) | instskip(SKIP_1) | instid1(VALU_DEP_1)
	v_fmac_f32_e32 v8, v5, v7
	s_wait_alu 0xfffd
	v_div_fmas_f32 v5, v8, v6, v7
	v_subrev_f32_e32 v6, s12, v3
	s_delay_alu instid0(VALU_DEP_2) | instskip(SKIP_1) | instid1(VALU_DEP_1)
	v_div_fixup_f32 v5, v5, s6, s11
	s_mov_b32 s6, exec_lo
	v_fma_f32 v5, v6, v5, s10
	s_delay_alu instid0(VALU_DEP_1)
	v_cmpx_lt_f32_e32 v2, v5
	s_cbranch_execz .LBB0_2
; %bb.14:                               ;   in Loop: Header=BB0_4 Depth=1
	v_cmp_eq_u32_e32 vcc_lo, 0, v4
	s_wait_alu 0xfffd
	v_cndmask_b32_e64 v4, 0, 1, vcc_lo
	s_branch .LBB0_2
.LBB0_15:
	v_lshlrev_b64_e32 v[0:1], 2, v[0:1]
	s_delay_alu instid0(VALU_DEP_1) | instskip(SKIP_1) | instid1(VALU_DEP_2)
	v_add_co_u32 v0, vcc_lo, s4, v0
	s_wait_alu 0xfffd
	v_add_co_ci_u32_e64 v1, null, s5, v1, vcc_lo
	global_store_b32 v[0:1], v4, off
.LBB0_16:
	s_endpgm
	.section	.rodata,"a",@progbits
	.p2align	6, 0x0
	.amdhsa_kernel _Z11pnpoly_basePiPK15HIP_vector_typeIfLj2EES3_i
		.amdhsa_group_segment_fixed_size 0
		.amdhsa_private_segment_fixed_size 0
		.amdhsa_kernarg_size 288
		.amdhsa_user_sgpr_count 2
		.amdhsa_user_sgpr_dispatch_ptr 0
		.amdhsa_user_sgpr_queue_ptr 0
		.amdhsa_user_sgpr_kernarg_segment_ptr 1
		.amdhsa_user_sgpr_dispatch_id 0
		.amdhsa_user_sgpr_private_segment_size 0
		.amdhsa_wavefront_size32 1
		.amdhsa_uses_dynamic_stack 0
		.amdhsa_enable_private_segment 0
		.amdhsa_system_sgpr_workgroup_id_x 1
		.amdhsa_system_sgpr_workgroup_id_y 0
		.amdhsa_system_sgpr_workgroup_id_z 0
		.amdhsa_system_sgpr_workgroup_info 0
		.amdhsa_system_vgpr_workitem_id 0
		.amdhsa_next_free_vgpr 10
		.amdhsa_next_free_sgpr 16
		.amdhsa_reserve_vcc 1
		.amdhsa_float_round_mode_32 0
		.amdhsa_float_round_mode_16_64 0
		.amdhsa_float_denorm_mode_32 3
		.amdhsa_float_denorm_mode_16_64 3
		.amdhsa_fp16_overflow 0
		.amdhsa_workgroup_processor_mode 1
		.amdhsa_memory_ordered 1
		.amdhsa_forward_progress 1
		.amdhsa_inst_pref_size 8
		.amdhsa_round_robin_scheduling 0
		.amdhsa_exception_fp_ieee_invalid_op 0
		.amdhsa_exception_fp_denorm_src 0
		.amdhsa_exception_fp_ieee_div_zero 0
		.amdhsa_exception_fp_ieee_overflow 0
		.amdhsa_exception_fp_ieee_underflow 0
		.amdhsa_exception_fp_ieee_inexact 0
		.amdhsa_exception_int_div_zero 0
	.end_amdhsa_kernel
	.text
.Lfunc_end0:
	.size	_Z11pnpoly_basePiPK15HIP_vector_typeIfLj2EES3_i, .Lfunc_end0-_Z11pnpoly_basePiPK15HIP_vector_typeIfLj2EES3_i
                                        ; -- End function
	.set _Z11pnpoly_basePiPK15HIP_vector_typeIfLj2EES3_i.num_vgpr, 10
	.set _Z11pnpoly_basePiPK15HIP_vector_typeIfLj2EES3_i.num_agpr, 0
	.set _Z11pnpoly_basePiPK15HIP_vector_typeIfLj2EES3_i.numbered_sgpr, 16
	.set _Z11pnpoly_basePiPK15HIP_vector_typeIfLj2EES3_i.num_named_barrier, 0
	.set _Z11pnpoly_basePiPK15HIP_vector_typeIfLj2EES3_i.private_seg_size, 0
	.set _Z11pnpoly_basePiPK15HIP_vector_typeIfLj2EES3_i.uses_vcc, 1
	.set _Z11pnpoly_basePiPK15HIP_vector_typeIfLj2EES3_i.uses_flat_scratch, 0
	.set _Z11pnpoly_basePiPK15HIP_vector_typeIfLj2EES3_i.has_dyn_sized_stack, 0
	.set _Z11pnpoly_basePiPK15HIP_vector_typeIfLj2EES3_i.has_recursion, 0
	.set _Z11pnpoly_basePiPK15HIP_vector_typeIfLj2EES3_i.has_indirect_call, 0
	.section	.AMDGPU.csdata,"",@progbits
; Kernel info:
; codeLenInByte = 996
; TotalNumSgprs: 18
; NumVgprs: 10
; ScratchSize: 0
; MemoryBound: 0
; FloatMode: 240
; IeeeMode: 1
; LDSByteSize: 0 bytes/workgroup (compile time only)
; SGPRBlocks: 0
; VGPRBlocks: 1
; NumSGPRsForWavesPerEU: 18
; NumVGPRsForWavesPerEU: 10
; Occupancy: 16
; WaveLimiterHint : 0
; COMPUTE_PGM_RSRC2:SCRATCH_EN: 0
; COMPUTE_PGM_RSRC2:USER_SGPR: 2
; COMPUTE_PGM_RSRC2:TRAP_HANDLER: 0
; COMPUTE_PGM_RSRC2:TGID_X_EN: 1
; COMPUTE_PGM_RSRC2:TGID_Y_EN: 0
; COMPUTE_PGM_RSRC2:TGID_Z_EN: 0
; COMPUTE_PGM_RSRC2:TIDIG_COMP_CNT: 0
	.section	.text._Z10pnpoly_optILi1EEvPiPK15HIP_vector_typeIfLj2EES4_i,"axG",@progbits,_Z10pnpoly_optILi1EEvPiPK15HIP_vector_typeIfLj2EES4_i,comdat
	.protected	_Z10pnpoly_optILi1EEvPiPK15HIP_vector_typeIfLj2EES4_i ; -- Begin function _Z10pnpoly_optILi1EEvPiPK15HIP_vector_typeIfLj2EES4_i
	.globl	_Z10pnpoly_optILi1EEvPiPK15HIP_vector_typeIfLj2EES4_i
	.p2align	8
	.type	_Z10pnpoly_optILi1EEvPiPK15HIP_vector_typeIfLj2EES4_i,@function
_Z10pnpoly_optILi1EEvPiPK15HIP_vector_typeIfLj2EES4_i: ; @_Z10pnpoly_optILi1EEvPiPK15HIP_vector_typeIfLj2EES4_i
; %bb.0:
	s_load_b32 s2, s[0:1], 0x18
	v_lshl_add_u32 v0, ttmp9, 8, v0
	s_wait_kmcnt 0x0
	s_delay_alu instid0(VALU_DEP_1)
	v_cmp_gt_i32_e32 vcc_lo, s2, v0
	s_and_saveexec_b32 s2, vcc_lo
	s_cbranch_execz .LBB1_4
; %bb.1:
	s_clause 0x1
	s_load_b128 s[20:23], s[0:1], 0x0
	s_load_b64 s[10:11], s[0:1], 0x10
	v_ashrrev_i32_e32 v1, 31, v0
	v_mov_b32_e32 v4, 0
	s_delay_alu instid0(VALU_DEP_2) | instskip(SKIP_1) | instid1(VALU_DEP_1)
	v_lshlrev_b64_e32 v[2:3], 3, v[0:1]
	s_wait_kmcnt 0x0
	v_add_co_u32 v2, vcc_lo, s22, v2
	s_delay_alu instid0(VALU_DEP_1)
	v_add_co_ci_u32_e64 v3, null, s23, v3, vcc_lo
	s_load_b64 s[0:1], s[10:11], 0x12b8
	s_mov_b64 s[22:23], 0
	global_load_b64 v[2:3], v[2:3], off
.LBB1_2:                                ; =>This Inner Loop Header: Depth=1
	s_wait_alu 0xfffe
	s_add_nc_u64 s[2:3], s[10:11], s[22:23]
	s_wait_loadcnt 0x0
	s_wait_kmcnt 0x0
	v_cmp_gt_f32_e32 vcc_lo, s1, v3
	s_clause 0x1
	s_load_b256 s[12:19], s[2:3], 0x0
	s_load_b64 s[24:25], s[2:3], 0x20
	s_add_nc_u64 s[22:23], s[22:23], 40
	s_wait_kmcnt 0x0
	s_sub_f32 s26, s0, s12
	s_sub_f32 s27, s1, s13
	v_cmp_gt_f32_e64 s0, s13, v3
	s_sub_f32 s28, s12, s14
	v_cmp_gt_f32_e64 s1, s15, v3
	s_wait_alu 0xfffe
	v_div_scale_f32 v10, null, s27, s27, s26
	s_sub_f32 s29, s14, s16
	v_cmp_gt_f32_e64 s2, s17, v3
	s_sub_f32 s30, s16, s18
	v_rcp_f32_e32 v20, v10
	v_xor_b32_e32 v10, 0x80000000, v10
	v_cmp_gt_f32_e64 s3, s19, v3
	s_sub_f32 s31, s18, s24
	v_div_scale_f32 v11, s5, s26, s27, s26
	s_xor_b32 s33, s0, vcc_lo
	s_mov_b32 vcc_lo, s5
	v_cmp_gt_f32_e64 s4, s25, v3
	s_xor_b32 s34, s1, s0
	s_delay_alu instid0(TRANS32_DEP_1)
	v_fma_f32 v25, v10, v20, 1.0
	v_subrev_f32_e32 v5, s13, v3
	s_sub_f32 s13, s13, s15
	s_xor_b32 s35, s2, s1
	s_xor_b32 s2, s3, s2
	v_fmac_f32_e32 v20, v25, v20
	s_wait_alu 0xfffe
	v_div_scale_f32 v12, null, s13, s13, s28
	v_subrev_f32_e32 v8, s19, v3
	v_div_scale_f32 v13, s6, s28, s13, s28
	s_delay_alu instid0(VALU_DEP_3) | instskip(SKIP_3) | instid1(VALU_DEP_1)
	v_rcp_f32_e32 v21, v12
	v_xor_b32_e32 v12, 0x80000000, v12
	v_mul_f32_e32 v25, v11, v20
	s_xor_b32 s3, s4, s3
	v_fma_f32 v30, v10, v25, v11
	s_delay_alu instid0(TRANS32_DEP_1) | instid1(VALU_DEP_3)
	v_fma_f32 v26, v12, v21, 1.0
	v_subrev_f32_e32 v6, s15, v3
	s_sub_f32 s15, s15, s17
	s_delay_alu instid0(VALU_DEP_2) | instskip(SKIP_1) | instid1(SALU_CYCLE_1)
	v_fmac_f32_e32 v21, v26, v21
	s_wait_alu 0xfffe
	v_div_scale_f32 v14, null, s15, s15, s29
	v_div_scale_f32 v15, s7, s29, s15, s29
	s_delay_alu instid0(VALU_DEP_3) | instskip(NEXT) | instid1(VALU_DEP_3)
	v_mul_f32_e32 v26, v13, v21
	v_rcp_f32_e32 v22, v14
	v_xor_b32_e32 v14, 0x80000000, v14
	s_delay_alu instid0(VALU_DEP_2) | instskip(NEXT) | instid1(VALU_DEP_1)
	v_fma_f32 v31, v12, v26, v13
	v_dual_fmac_f32 v25, v30, v20 :: v_dual_fmac_f32 v26, v31, v21
	s_delay_alu instid0(TRANS32_DEP_1) | instid1(VALU_DEP_3)
	v_fma_f32 v27, v14, v22, 1.0
	v_subrev_f32_e32 v7, s17, v3
	s_sub_f32 s17, s17, s19
	s_sub_f32 s19, s19, s25
	s_delay_alu instid0(VALU_DEP_2) | instskip(SKIP_4) | instid1(VALU_DEP_3)
	v_dual_fmac_f32 v11, v10, v25 :: v_dual_fmac_f32 v22, v27, v22
	s_wait_alu 0xfffe
	v_div_scale_f32 v16, null, s17, s17, s30
	v_div_scale_f32 v18, null, s19, s19, s31
	v_div_scale_f32 v17, s8, s30, s17, s30
	v_rcp_f32_e32 v23, v16
	s_delay_alu instid0(VALU_DEP_2)
	v_rcp_f32_e32 v24, v18
	v_xor_b32_e32 v16, 0x80000000, v16
	v_xor_b32_e32 v18, 0x80000000, v18
	v_div_scale_f32 v19, s9, s31, s19, s31
	v_fmac_f32_e32 v13, v12, v26
	v_div_fmas_f32 v10, v11, v20, v25
	s_mov_b32 vcc_lo, s6
	s_delay_alu instid0(TRANS32_DEP_2) | instskip(NEXT) | instid1(TRANS32_DEP_1)
	v_fma_f32 v28, v16, v23, 1.0
	v_fma_f32 v29, v18, v24, 1.0
	v_subrev_f32_e32 v9, s25, v3
	s_wait_alu 0xfffe
	v_div_fmas_f32 v11, v13, v21, v26
	s_mov_b32 vcc_lo, s7
	v_dual_fmac_f32 v23, v28, v23 :: v_dual_fmac_f32 v24, v29, v24
	v_mul_f32_e32 v27, v15, v22
	v_div_fixup_f32 v10, v10, s27, s26
	v_div_fixup_f32 v11, v11, s13, s28
	s_delay_alu instid0(VALU_DEP_4) | instskip(NEXT) | instid1(VALU_DEP_4)
	v_mul_f32_e32 v28, v17, v23
	v_fma_f32 v32, v14, v27, v15
	s_delay_alu instid0(VALU_DEP_4) | instskip(NEXT) | instid1(VALU_DEP_4)
	v_fma_f32 v5, v5, v10, s12
	v_fma_f32 v6, v6, v11, s14
	s_delay_alu instid0(VALU_DEP_4) | instskip(SKIP_2) | instid1(VALU_DEP_4)
	v_fma_f32 v33, v16, v28, v17
	v_mul_f32_e32 v29, v19, v24
	v_fmac_f32_e32 v27, v32, v22
	v_cmp_lt_f32_e64 s0, v2, v6
	s_delay_alu instid0(VALU_DEP_4) | instskip(NEXT) | instid1(VALU_DEP_4)
	v_fmac_f32_e32 v28, v33, v23
	v_fma_f32 v34, v18, v29, v19
	s_delay_alu instid0(VALU_DEP_4) | instskip(SKIP_1) | instid1(VALU_DEP_3)
	v_fmac_f32_e32 v15, v14, v27
	s_and_b32 s0, s34, s0
	v_fmac_f32_e32 v17, v16, v28
	s_delay_alu instid0(VALU_DEP_3)
	v_fmac_f32_e32 v29, v34, v24
	s_wait_alu 0xfffe
	v_div_fmas_f32 v12, v15, v22, v27
	s_mov_b32 vcc_lo, s8
	s_wait_alu 0xfffe
	v_div_fmas_f32 v13, v17, v23, v28
	v_fmac_f32_e32 v19, v18, v29
	s_mov_b32 vcc_lo, s9
	v_div_fixup_f32 v12, v12, s15, s29
	s_delay_alu instid0(VALU_DEP_3)
	v_div_fixup_f32 v10, v13, s17, s30
	s_wait_alu 0xfffe
	v_div_fmas_f32 v14, v19, v24, v29
	v_cmp_lt_f32_e32 vcc_lo, v2, v5
	v_fma_f32 v7, v7, v12, s16
	v_fma_f32 v5, v8, v10, s18
	s_delay_alu instid0(VALU_DEP_4) | instskip(SKIP_1) | instid1(VALU_DEP_3)
	v_div_fixup_f32 v11, v14, s19, s31
	s_and_b32 s4, s33, vcc_lo
	v_cmp_lt_f32_e64 s1, v2, v7
	s_wait_alu 0xfffe
	v_cndmask_b32_e64 v7, 0, 1, s4
	v_cmp_lt_f32_e32 vcc_lo, v2, v5
	v_fma_f32 v6, v9, v11, s24
	v_cndmask_b32_e64 v5, 0, 1, s0
	s_and_b32 s1, s35, s1
	v_xor_b32_e32 v4, v4, v7
	s_delay_alu instid0(VALU_DEP_3)
	v_cmp_lt_f32_e64 s0, v2, v6
	s_wait_alu 0xfffe
	v_cndmask_b32_e64 v6, 0, 1, s1
	s_and_b32 s1, s2, vcc_lo
	s_wait_alu 0xfffe
	v_cndmask_b32_e64 v7, 0, 1, s1
	s_and_b32 s0, s3, s0
	v_xor3_b32 v4, v4, v5, v6
	s_wait_alu 0xfffe
	v_cndmask_b32_e64 v8, 0, 1, s0
	s_mov_b32 s1, s25
	s_cmp_eq_u32 s22, 0x12c0
	s_mov_b32 s0, s24
	s_delay_alu instid0(VALU_DEP_1)
	v_xor3_b32 v4, v4, v7, v8
	s_cbranch_scc0 .LBB1_2
; %bb.3:
	v_lshlrev_b64_e32 v[0:1], 2, v[0:1]
	s_delay_alu instid0(VALU_DEP_1) | instskip(SKIP_1) | instid1(VALU_DEP_2)
	v_add_co_u32 v0, vcc_lo, s20, v0
	s_wait_alu 0xfffd
	v_add_co_ci_u32_e64 v1, null, s21, v1, vcc_lo
	global_store_b32 v[0:1], v4, off
.LBB1_4:
	s_endpgm
	.section	.rodata,"a",@progbits
	.p2align	6, 0x0
	.amdhsa_kernel _Z10pnpoly_optILi1EEvPiPK15HIP_vector_typeIfLj2EES4_i
		.amdhsa_group_segment_fixed_size 0
		.amdhsa_private_segment_fixed_size 0
		.amdhsa_kernarg_size 28
		.amdhsa_user_sgpr_count 2
		.amdhsa_user_sgpr_dispatch_ptr 0
		.amdhsa_user_sgpr_queue_ptr 0
		.amdhsa_user_sgpr_kernarg_segment_ptr 1
		.amdhsa_user_sgpr_dispatch_id 0
		.amdhsa_user_sgpr_private_segment_size 0
		.amdhsa_wavefront_size32 1
		.amdhsa_uses_dynamic_stack 0
		.amdhsa_enable_private_segment 0
		.amdhsa_system_sgpr_workgroup_id_x 1
		.amdhsa_system_sgpr_workgroup_id_y 0
		.amdhsa_system_sgpr_workgroup_id_z 0
		.amdhsa_system_sgpr_workgroup_info 0
		.amdhsa_system_vgpr_workitem_id 0
		.amdhsa_next_free_vgpr 35
		.amdhsa_next_free_sgpr 36
		.amdhsa_reserve_vcc 1
		.amdhsa_float_round_mode_32 0
		.amdhsa_float_round_mode_16_64 0
		.amdhsa_float_denorm_mode_32 3
		.amdhsa_float_denorm_mode_16_64 3
		.amdhsa_fp16_overflow 0
		.amdhsa_workgroup_processor_mode 1
		.amdhsa_memory_ordered 1
		.amdhsa_forward_progress 1
		.amdhsa_inst_pref_size 9
		.amdhsa_round_robin_scheduling 0
		.amdhsa_exception_fp_ieee_invalid_op 0
		.amdhsa_exception_fp_denorm_src 0
		.amdhsa_exception_fp_ieee_div_zero 0
		.amdhsa_exception_fp_ieee_overflow 0
		.amdhsa_exception_fp_ieee_underflow 0
		.amdhsa_exception_fp_ieee_inexact 0
		.amdhsa_exception_int_div_zero 0
	.end_amdhsa_kernel
	.section	.text._Z10pnpoly_optILi1EEvPiPK15HIP_vector_typeIfLj2EES4_i,"axG",@progbits,_Z10pnpoly_optILi1EEvPiPK15HIP_vector_typeIfLj2EES4_i,comdat
.Lfunc_end1:
	.size	_Z10pnpoly_optILi1EEvPiPK15HIP_vector_typeIfLj2EES4_i, .Lfunc_end1-_Z10pnpoly_optILi1EEvPiPK15HIP_vector_typeIfLj2EES4_i
                                        ; -- End function
	.set _Z10pnpoly_optILi1EEvPiPK15HIP_vector_typeIfLj2EES4_i.num_vgpr, 35
	.set _Z10pnpoly_optILi1EEvPiPK15HIP_vector_typeIfLj2EES4_i.num_agpr, 0
	.set _Z10pnpoly_optILi1EEvPiPK15HIP_vector_typeIfLj2EES4_i.numbered_sgpr, 36
	.set _Z10pnpoly_optILi1EEvPiPK15HIP_vector_typeIfLj2EES4_i.num_named_barrier, 0
	.set _Z10pnpoly_optILi1EEvPiPK15HIP_vector_typeIfLj2EES4_i.private_seg_size, 0
	.set _Z10pnpoly_optILi1EEvPiPK15HIP_vector_typeIfLj2EES4_i.uses_vcc, 1
	.set _Z10pnpoly_optILi1EEvPiPK15HIP_vector_typeIfLj2EES4_i.uses_flat_scratch, 0
	.set _Z10pnpoly_optILi1EEvPiPK15HIP_vector_typeIfLj2EES4_i.has_dyn_sized_stack, 0
	.set _Z10pnpoly_optILi1EEvPiPK15HIP_vector_typeIfLj2EES4_i.has_recursion, 0
	.set _Z10pnpoly_optILi1EEvPiPK15HIP_vector_typeIfLj2EES4_i.has_indirect_call, 0
	.section	.AMDGPU.csdata,"",@progbits
; Kernel info:
; codeLenInByte = 1032
; TotalNumSgprs: 38
; NumVgprs: 35
; ScratchSize: 0
; MemoryBound: 0
; FloatMode: 240
; IeeeMode: 1
; LDSByteSize: 0 bytes/workgroup (compile time only)
; SGPRBlocks: 0
; VGPRBlocks: 4
; NumSGPRsForWavesPerEU: 38
; NumVGPRsForWavesPerEU: 35
; Occupancy: 16
; WaveLimiterHint : 0
; COMPUTE_PGM_RSRC2:SCRATCH_EN: 0
; COMPUTE_PGM_RSRC2:USER_SGPR: 2
; COMPUTE_PGM_RSRC2:TRAP_HANDLER: 0
; COMPUTE_PGM_RSRC2:TGID_X_EN: 1
; COMPUTE_PGM_RSRC2:TGID_Y_EN: 0
; COMPUTE_PGM_RSRC2:TGID_Z_EN: 0
; COMPUTE_PGM_RSRC2:TIDIG_COMP_CNT: 0
	.section	.text._Z10pnpoly_optILi2EEvPiPK15HIP_vector_typeIfLj2EES4_i,"axG",@progbits,_Z10pnpoly_optILi2EEvPiPK15HIP_vector_typeIfLj2EES4_i,comdat
	.protected	_Z10pnpoly_optILi2EEvPiPK15HIP_vector_typeIfLj2EES4_i ; -- Begin function _Z10pnpoly_optILi2EEvPiPK15HIP_vector_typeIfLj2EES4_i
	.globl	_Z10pnpoly_optILi2EEvPiPK15HIP_vector_typeIfLj2EES4_i
	.p2align	8
	.type	_Z10pnpoly_optILi2EEvPiPK15HIP_vector_typeIfLj2EES4_i,@function
_Z10pnpoly_optILi2EEvPiPK15HIP_vector_typeIfLj2EES4_i: ; @_Z10pnpoly_optILi2EEvPiPK15HIP_vector_typeIfLj2EES4_i
; %bb.0:
	s_load_b32 s8, s[0:1], 0x18
	v_lshl_add_u32 v0, ttmp9, 9, v0
	s_mov_b32 s2, exec_lo
	s_wait_kmcnt 0x0
	s_delay_alu instid0(VALU_DEP_1)
	v_cmpx_gt_i32_e64 s8, v0
	s_cbranch_execz .LBB2_23
; %bb.1:
	s_clause 0x1
	s_load_b128 s[4:7], s[0:1], 0x0
	s_load_b64 s[2:3], s[0:1], 0x10
	v_ashrrev_i32_e32 v1, 31, v0
	v_add_nc_u32_e32 v4, 0x100, v0
	s_delay_alu instid0(VALU_DEP_2) | instskip(NEXT) | instid1(VALU_DEP_2)
	v_lshlrev_b64_e32 v[2:3], 3, v[0:1]
	v_cmp_gt_i32_e64 s0, s8, v4
                                        ; implicit-def: $vgpr5
	s_wait_kmcnt 0x0
	s_delay_alu instid0(VALU_DEP_2) | instskip(NEXT) | instid1(VALU_DEP_1)
	v_add_co_u32 v6, vcc_lo, s6, v2
	v_add_co_ci_u32_e64 v7, null, s7, v3, vcc_lo
	global_load_b64 v[2:3], v[6:7], off
	s_and_saveexec_b32 s1, s0
	s_cbranch_execz .LBB2_3
; %bb.2:
	global_load_b64 v[4:5], v[6:7], off offset:2048
.LBB2_3:
	s_wait_alu 0xfffe
	s_or_b32 exec_lo, exec_lo, s1
	s_load_b64 s[8:9], s[2:3], 0x12b8
	v_mov_b32_e32 v7, 0
	s_mov_b64 s[6:7], 0
	s_delay_alu instid0(VALU_DEP_1)
	v_mov_b32_e32 v6, v7
	s_branch .LBB2_6
.LBB2_4:                                ;   in Loop: Header=BB2_6 Depth=1
	s_wait_alu 0xfffe
	s_or_b32 exec_lo, exec_lo, s10
.LBB2_5:                                ;   in Loop: Header=BB2_6 Depth=1
	s_wait_alu 0xfffe
	s_or_b32 exec_lo, exec_lo, s1
	s_add_nc_u64 s[6:7], s[6:7], 16
	s_wait_alu 0xfffe
	s_cmp_lg_u32 s6, 0x12c0
	s_cbranch_scc0 .LBB2_21
.LBB2_6:                                ; =>This Inner Loop Header: Depth=1
	s_wait_alu 0xfffe
	s_add_nc_u64 s[12:13], s[2:3], s[6:7]
	s_wait_loadcnt 0x0
	s_wait_kmcnt 0x0
	v_cmp_ngt_f32_e64 s1, s9, v3
	s_load_b64 s[10:11], s[12:13], 0x0
	s_wait_kmcnt 0x0
	s_sub_f32 s8, s8, s10
	s_sub_f32 s14, s9, s11
	s_wait_alu 0xfffe
	s_delay_alu instid0(SALU_CYCLE_2) | instskip(SKIP_1) | instid1(VALU_DEP_2)
	v_div_scale_f32 v8, null, s14, s14, s8
	v_div_scale_f32 v11, vcc_lo, s8, s14, s8
	v_rcp_f32_e32 v9, v8
	v_xor_b32_e32 v8, 0x80000000, v8
	s_delay_alu instid0(TRANS32_DEP_1) | instid1(VALU_DEP_1)
	v_fma_f32 v10, v8, v9, 1.0
	s_delay_alu instid0(VALU_DEP_1) | instskip(NEXT) | instid1(VALU_DEP_1)
	v_fmac_f32_e32 v9, v10, v9
	v_mul_f32_e32 v10, v11, v9
	s_delay_alu instid0(VALU_DEP_1) | instskip(NEXT) | instid1(VALU_DEP_1)
	v_fma_f32 v12, v8, v10, v11
	v_fmac_f32_e32 v10, v12, v9
	s_delay_alu instid0(VALU_DEP_1) | instskip(SKIP_1) | instid1(VALU_DEP_1)
	v_fmac_f32_e32 v11, v8, v10
	s_wait_alu 0xfffd
	v_div_fmas_f32 v8, v11, v9, v10
	v_cmp_gt_f32_e32 vcc_lo, s11, v3
	s_delay_alu instid0(VALU_DEP_2)
	v_div_fixup_f32 v8, v8, s14, s8
	s_xor_b32 s1, vcc_lo, s1
	s_wait_alu 0xfffe
	s_xor_b32 s8, s1, -1
	s_wait_alu 0xfffe
	s_and_saveexec_b32 s1, s8
	s_cbranch_execz .LBB2_10
; %bb.7:                                ;   in Loop: Header=BB2_6 Depth=1
	v_subrev_f32_e32 v9, s11, v3
	s_mov_b32 s8, exec_lo
	s_delay_alu instid0(VALU_DEP_1) | instskip(NEXT) | instid1(VALU_DEP_1)
	v_fma_f32 v9, v8, v9, s10
	v_cmpx_lt_f32_e32 v2, v9
; %bb.8:                                ;   in Loop: Header=BB2_6 Depth=1
	v_cmp_eq_u32_e32 vcc_lo, 0, v7
	s_wait_alu 0xfffd
	v_cndmask_b32_e64 v7, 0, 1, vcc_lo
; %bb.9:                                ;   in Loop: Header=BB2_6 Depth=1
	s_wait_alu 0xfffe
	s_or_b32 exec_lo, exec_lo, s8
.LBB2_10:                               ;   in Loop: Header=BB2_6 Depth=1
	s_wait_alu 0xfffe
	s_or_b32 exec_lo, exec_lo, s1
	v_cmp_gt_f32_e32 vcc_lo, s11, v5
	v_cmp_ngt_f32_e64 s1, s9, v5
	s_xor_b32 s1, vcc_lo, s1
	s_wait_alu 0xfffe
	s_xor_b32 s8, s1, -1
	s_wait_alu 0xfffe
	s_and_saveexec_b32 s1, s8
	s_cbranch_execz .LBB2_14
; %bb.11:                               ;   in Loop: Header=BB2_6 Depth=1
	v_subrev_f32_e32 v9, s11, v5
	s_mov_b32 s8, exec_lo
	s_delay_alu instid0(VALU_DEP_1) | instskip(NEXT) | instid1(VALU_DEP_1)
	v_fma_f32 v8, v8, v9, s10
	v_cmpx_lt_f32_e32 v4, v8
; %bb.12:                               ;   in Loop: Header=BB2_6 Depth=1
	v_cmp_eq_u32_e32 vcc_lo, 0, v6
	s_wait_alu 0xfffd
	v_cndmask_b32_e64 v6, 0, 1, vcc_lo
; %bb.13:                               ;   in Loop: Header=BB2_6 Depth=1
	s_wait_alu 0xfffe
	s_or_b32 exec_lo, exec_lo, s8
.LBB2_14:                               ;   in Loop: Header=BB2_6 Depth=1
	s_wait_alu 0xfffe
	s_or_b32 exec_lo, exec_lo, s1
	s_load_b64 s[8:9], s[12:13], 0x8
	v_cmp_ngt_f32_e64 s1, s11, v3
	s_wait_kmcnt 0x0
	s_sub_f32 s10, s10, s8
	s_sub_f32 s12, s11, s9
	s_wait_alu 0xfffe
	s_delay_alu instid0(SALU_CYCLE_2) | instskip(SKIP_1) | instid1(VALU_DEP_2)
	v_div_scale_f32 v8, null, s12, s12, s10
	v_div_scale_f32 v11, vcc_lo, s10, s12, s10
	v_rcp_f32_e32 v9, v8
	v_xor_b32_e32 v8, 0x80000000, v8
	s_delay_alu instid0(TRANS32_DEP_1) | instid1(VALU_DEP_1)
	v_fma_f32 v10, v8, v9, 1.0
	s_delay_alu instid0(VALU_DEP_1) | instskip(NEXT) | instid1(VALU_DEP_1)
	v_fmac_f32_e32 v9, v10, v9
	v_mul_f32_e32 v10, v11, v9
	s_delay_alu instid0(VALU_DEP_1) | instskip(NEXT) | instid1(VALU_DEP_1)
	v_fma_f32 v12, v8, v10, v11
	v_fmac_f32_e32 v10, v12, v9
	s_delay_alu instid0(VALU_DEP_1) | instskip(SKIP_1) | instid1(VALU_DEP_1)
	v_fmac_f32_e32 v11, v8, v10
	s_wait_alu 0xfffd
	v_div_fmas_f32 v8, v11, v9, v10
	v_cmp_gt_f32_e32 vcc_lo, s9, v3
	s_delay_alu instid0(VALU_DEP_2)
	v_div_fixup_f32 v8, v8, s12, s10
	s_xor_b32 s1, vcc_lo, s1
	s_wait_alu 0xfffe
	s_xor_b32 s10, s1, -1
	s_wait_alu 0xfffe
	s_and_saveexec_b32 s1, s10
	s_cbranch_execz .LBB2_18
; %bb.15:                               ;   in Loop: Header=BB2_6 Depth=1
	v_subrev_f32_e32 v9, s9, v3
	s_mov_b32 s10, exec_lo
	s_delay_alu instid0(VALU_DEP_1) | instskip(NEXT) | instid1(VALU_DEP_1)
	v_fma_f32 v9, v8, v9, s8
	v_cmpx_lt_f32_e32 v2, v9
; %bb.16:                               ;   in Loop: Header=BB2_6 Depth=1
	v_cmp_eq_u32_e32 vcc_lo, 0, v7
	s_wait_alu 0xfffd
	v_cndmask_b32_e64 v7, 0, 1, vcc_lo
; %bb.17:                               ;   in Loop: Header=BB2_6 Depth=1
	s_wait_alu 0xfffe
	s_or_b32 exec_lo, exec_lo, s10
.LBB2_18:                               ;   in Loop: Header=BB2_6 Depth=1
	s_wait_alu 0xfffe
	s_or_b32 exec_lo, exec_lo, s1
	v_cmp_gt_f32_e32 vcc_lo, s9, v5
	v_cmp_ngt_f32_e64 s1, s11, v5
	s_xor_b32 s1, vcc_lo, s1
	s_wait_alu 0xfffe
	s_xor_b32 s10, s1, -1
	s_wait_alu 0xfffe
	s_and_saveexec_b32 s1, s10
	s_cbranch_execz .LBB2_5
; %bb.19:                               ;   in Loop: Header=BB2_6 Depth=1
	v_subrev_f32_e32 v9, s9, v5
	s_mov_b32 s10, exec_lo
	s_delay_alu instid0(VALU_DEP_1) | instskip(NEXT) | instid1(VALU_DEP_1)
	v_fma_f32 v8, v8, v9, s8
	v_cmpx_lt_f32_e32 v4, v8
	s_cbranch_execz .LBB2_4
; %bb.20:                               ;   in Loop: Header=BB2_6 Depth=1
	v_cmp_eq_u32_e32 vcc_lo, 0, v6
	s_wait_alu 0xfffd
	v_cndmask_b32_e64 v6, 0, 1, vcc_lo
	s_branch .LBB2_4
.LBB2_21:
	v_lshlrev_b64_e32 v[0:1], 2, v[0:1]
	s_delay_alu instid0(VALU_DEP_1) | instskip(SKIP_1) | instid1(VALU_DEP_2)
	v_add_co_u32 v0, vcc_lo, s4, v0
	s_wait_alu 0xfffd
	v_add_co_ci_u32_e64 v1, null, s5, v1, vcc_lo
	global_store_b32 v[0:1], v7, off
	s_and_b32 exec_lo, exec_lo, s0
	s_cbranch_execz .LBB2_23
; %bb.22:
	global_store_b32 v[0:1], v6, off offset:1024
.LBB2_23:
	s_endpgm
	.section	.rodata,"a",@progbits
	.p2align	6, 0x0
	.amdhsa_kernel _Z10pnpoly_optILi2EEvPiPK15HIP_vector_typeIfLj2EES4_i
		.amdhsa_group_segment_fixed_size 0
		.amdhsa_private_segment_fixed_size 0
		.amdhsa_kernarg_size 28
		.amdhsa_user_sgpr_count 2
		.amdhsa_user_sgpr_dispatch_ptr 0
		.amdhsa_user_sgpr_queue_ptr 0
		.amdhsa_user_sgpr_kernarg_segment_ptr 1
		.amdhsa_user_sgpr_dispatch_id 0
		.amdhsa_user_sgpr_private_segment_size 0
		.amdhsa_wavefront_size32 1
		.amdhsa_uses_dynamic_stack 0
		.amdhsa_enable_private_segment 0
		.amdhsa_system_sgpr_workgroup_id_x 1
		.amdhsa_system_sgpr_workgroup_id_y 0
		.amdhsa_system_sgpr_workgroup_id_z 0
		.amdhsa_system_sgpr_workgroup_info 0
		.amdhsa_system_vgpr_workitem_id 0
		.amdhsa_next_free_vgpr 13
		.amdhsa_next_free_sgpr 15
		.amdhsa_reserve_vcc 1
		.amdhsa_float_round_mode_32 0
		.amdhsa_float_round_mode_16_64 0
		.amdhsa_float_denorm_mode_32 3
		.amdhsa_float_denorm_mode_16_64 3
		.amdhsa_fp16_overflow 0
		.amdhsa_workgroup_processor_mode 1
		.amdhsa_memory_ordered 1
		.amdhsa_forward_progress 1
		.amdhsa_inst_pref_size 8
		.amdhsa_round_robin_scheduling 0
		.amdhsa_exception_fp_ieee_invalid_op 0
		.amdhsa_exception_fp_denorm_src 0
		.amdhsa_exception_fp_ieee_div_zero 0
		.amdhsa_exception_fp_ieee_overflow 0
		.amdhsa_exception_fp_ieee_underflow 0
		.amdhsa_exception_fp_ieee_inexact 0
		.amdhsa_exception_int_div_zero 0
	.end_amdhsa_kernel
	.section	.text._Z10pnpoly_optILi2EEvPiPK15HIP_vector_typeIfLj2EES4_i,"axG",@progbits,_Z10pnpoly_optILi2EEvPiPK15HIP_vector_typeIfLj2EES4_i,comdat
.Lfunc_end2:
	.size	_Z10pnpoly_optILi2EEvPiPK15HIP_vector_typeIfLj2EES4_i, .Lfunc_end2-_Z10pnpoly_optILi2EEvPiPK15HIP_vector_typeIfLj2EES4_i
                                        ; -- End function
	.set _Z10pnpoly_optILi2EEvPiPK15HIP_vector_typeIfLj2EES4_i.num_vgpr, 13
	.set _Z10pnpoly_optILi2EEvPiPK15HIP_vector_typeIfLj2EES4_i.num_agpr, 0
	.set _Z10pnpoly_optILi2EEvPiPK15HIP_vector_typeIfLj2EES4_i.numbered_sgpr, 15
	.set _Z10pnpoly_optILi2EEvPiPK15HIP_vector_typeIfLj2EES4_i.num_named_barrier, 0
	.set _Z10pnpoly_optILi2EEvPiPK15HIP_vector_typeIfLj2EES4_i.private_seg_size, 0
	.set _Z10pnpoly_optILi2EEvPiPK15HIP_vector_typeIfLj2EES4_i.uses_vcc, 1
	.set _Z10pnpoly_optILi2EEvPiPK15HIP_vector_typeIfLj2EES4_i.uses_flat_scratch, 0
	.set _Z10pnpoly_optILi2EEvPiPK15HIP_vector_typeIfLj2EES4_i.has_dyn_sized_stack, 0
	.set _Z10pnpoly_optILi2EEvPiPK15HIP_vector_typeIfLj2EES4_i.has_recursion, 0
	.set _Z10pnpoly_optILi2EEvPiPK15HIP_vector_typeIfLj2EES4_i.has_indirect_call, 0
	.section	.AMDGPU.csdata,"",@progbits
; Kernel info:
; codeLenInByte = 912
; TotalNumSgprs: 17
; NumVgprs: 13
; ScratchSize: 0
; MemoryBound: 0
; FloatMode: 240
; IeeeMode: 1
; LDSByteSize: 0 bytes/workgroup (compile time only)
; SGPRBlocks: 0
; VGPRBlocks: 1
; NumSGPRsForWavesPerEU: 17
; NumVGPRsForWavesPerEU: 13
; Occupancy: 16
; WaveLimiterHint : 0
; COMPUTE_PGM_RSRC2:SCRATCH_EN: 0
; COMPUTE_PGM_RSRC2:USER_SGPR: 2
; COMPUTE_PGM_RSRC2:TRAP_HANDLER: 0
; COMPUTE_PGM_RSRC2:TGID_X_EN: 1
; COMPUTE_PGM_RSRC2:TGID_Y_EN: 0
; COMPUTE_PGM_RSRC2:TGID_Z_EN: 0
; COMPUTE_PGM_RSRC2:TIDIG_COMP_CNT: 0
	.section	.text._Z10pnpoly_optILi4EEvPiPK15HIP_vector_typeIfLj2EES4_i,"axG",@progbits,_Z10pnpoly_optILi4EEvPiPK15HIP_vector_typeIfLj2EES4_i,comdat
	.protected	_Z10pnpoly_optILi4EEvPiPK15HIP_vector_typeIfLj2EES4_i ; -- Begin function _Z10pnpoly_optILi4EEvPiPK15HIP_vector_typeIfLj2EES4_i
	.globl	_Z10pnpoly_optILi4EEvPiPK15HIP_vector_typeIfLj2EES4_i
	.p2align	8
	.type	_Z10pnpoly_optILi4EEvPiPK15HIP_vector_typeIfLj2EES4_i,@function
_Z10pnpoly_optILi4EEvPiPK15HIP_vector_typeIfLj2EES4_i: ; @_Z10pnpoly_optILi4EEvPiPK15HIP_vector_typeIfLj2EES4_i
; %bb.0:
	s_load_b32 s8, s[0:1], 0x18
	v_lshl_or_b32 v0, ttmp9, 10, v0
	s_mov_b32 s2, exec_lo
	s_wait_kmcnt 0x0
	s_delay_alu instid0(VALU_DEP_1)
	v_cmpx_gt_i32_e64 s8, v0
	s_cbranch_execz .LBB3_30
; %bb.1:
	s_load_b64 s[2:3], s[0:1], 0x8
	v_ashrrev_i32_e32 v1, 31, v0
	v_add_nc_u32_e32 v4, 0x100, v0
	s_delay_alu instid0(VALU_DEP_2) | instskip(SKIP_1) | instid1(VALU_DEP_1)
	v_lshlrev_b64_e32 v[2:3], 3, v[0:1]
	s_wait_kmcnt 0x0
	v_add_co_u32 v10, vcc_lo, s2, v2
	s_delay_alu instid0(VALU_DEP_1)
	v_add_co_ci_u32_e64 v11, null, s3, v3, vcc_lo
	v_cmp_gt_i32_e64 s2, s8, v4
                                        ; implicit-def: $vgpr5
	global_load_b64 v[2:3], v[10:11], off
	s_and_saveexec_b32 s3, s2
	s_cbranch_execz .LBB3_3
; %bb.2:
	global_load_b64 v[4:5], v[10:11], off offset:2048
.LBB3_3:
	s_wait_alu 0xfffe
	s_or_b32 exec_lo, exec_lo, s3
	s_load_b64 s[4:5], s[0:1], 0x10
	v_add_nc_u32_e32 v6, 0x200, v0
	s_delay_alu instid0(VALU_DEP_1)
	v_cmp_gt_i32_e64 s3, s8, v6
                                        ; implicit-def: $vgpr7
	s_and_saveexec_b32 s6, s3
	s_cbranch_execz .LBB3_5
; %bb.4:
	global_load_b64 v[6:7], v[10:11], off offset:4096
.LBB3_5:
	s_or_b32 exec_lo, exec_lo, s6
	s_load_b64 s[6:7], s[0:1], 0x0
	v_add_nc_u32_e32 v8, 0x300, v0
	s_delay_alu instid0(VALU_DEP_1)
	v_cmp_gt_i32_e64 s0, s8, v8
                                        ; implicit-def: $vgpr9
	s_and_saveexec_b32 s1, s0
	s_cbranch_execz .LBB3_7
; %bb.6:
	global_load_b64 v[8:9], v[10:11], off offset:6144
.LBB3_7:
	s_wait_alu 0xfffe
	s_or_b32 exec_lo, exec_lo, s1
	s_wait_kmcnt 0x0
	s_load_b64 s[12:13], s[4:5], 0x12b8
	v_mov_b32_e32 v13, 0
	s_mov_b64 s[8:9], 0
	s_delay_alu instid0(VALU_DEP_1)
	v_dual_mov_b32 v12, v13 :: v_dual_mov_b32 v11, v13
	v_mov_b32_e32 v10, v13
	s_wait_kmcnt 0x0
	s_mov_b32 s10, s12
.LBB3_8:                                ; =>This Inner Loop Header: Depth=1
	s_wait_alu 0xfffe
	s_add_nc_u64 s[14:15], s[4:5], s[8:9]
	s_mov_b32 s1, s10
	s_load_b64 s[10:11], s[14:15], 0x0
	s_wait_kmcnt 0x0
	s_sub_f32 s12, s1, s10
	s_sub_f32 s14, s13, s11
	s_wait_loadcnt 0x0
	v_cmp_ngt_f32_e64 s1, s13, v3
	s_wait_alu 0xfffe
	v_div_scale_f32 v14, null, s14, s14, s12
	v_div_scale_f32 v17, vcc_lo, s12, s14, s12
	s_delay_alu instid0(VALU_DEP_2)
	v_rcp_f32_e32 v15, v14
	v_xor_b32_e32 v14, 0x80000000, v14
	s_delay_alu instid0(TRANS32_DEP_1) | instid1(VALU_DEP_1)
	v_fma_f32 v16, v14, v15, 1.0
	s_delay_alu instid0(VALU_DEP_1) | instskip(NEXT) | instid1(VALU_DEP_1)
	v_fmac_f32_e32 v15, v16, v15
	v_mul_f32_e32 v16, v17, v15
	s_delay_alu instid0(VALU_DEP_1) | instskip(NEXT) | instid1(VALU_DEP_1)
	v_fma_f32 v18, v14, v16, v17
	v_fmac_f32_e32 v16, v18, v15
	s_delay_alu instid0(VALU_DEP_1) | instskip(SKIP_1) | instid1(VALU_DEP_1)
	v_fmac_f32_e32 v17, v14, v16
	s_wait_alu 0xfffd
	v_div_fmas_f32 v14, v17, v15, v16
	v_cmp_gt_f32_e32 vcc_lo, s11, v3
	s_delay_alu instid0(VALU_DEP_2)
	v_div_fixup_f32 v14, v14, s14, s12
	s_xor_b32 s1, vcc_lo, s1
	s_wait_alu 0xfffe
	s_xor_b32 s12, s1, -1
	s_wait_alu 0xfffe
	s_and_saveexec_b32 s1, s12
	s_cbranch_execz .LBB3_12
; %bb.9:                                ;   in Loop: Header=BB3_8 Depth=1
	v_subrev_f32_e32 v15, s11, v3
	s_mov_b32 s12, exec_lo
	s_delay_alu instid0(VALU_DEP_1) | instskip(NEXT) | instid1(VALU_DEP_1)
	v_fma_f32 v15, v14, v15, s10
	v_cmpx_lt_f32_e32 v2, v15
; %bb.10:                               ;   in Loop: Header=BB3_8 Depth=1
	v_cmp_eq_u32_e32 vcc_lo, 0, v13
	s_wait_alu 0xfffd
	v_cndmask_b32_e64 v13, 0, 1, vcc_lo
; %bb.11:                               ;   in Loop: Header=BB3_8 Depth=1
	s_wait_alu 0xfffe
	s_or_b32 exec_lo, exec_lo, s12
.LBB3_12:                               ;   in Loop: Header=BB3_8 Depth=1
	s_wait_alu 0xfffe
	s_or_b32 exec_lo, exec_lo, s1
	v_cmp_gt_f32_e32 vcc_lo, s11, v5
	v_cmp_ngt_f32_e64 s1, s13, v5
	s_xor_b32 s1, vcc_lo, s1
	s_wait_alu 0xfffe
	s_xor_b32 s12, s1, -1
	s_wait_alu 0xfffe
	s_and_saveexec_b32 s1, s12
	s_cbranch_execz .LBB3_16
; %bb.13:                               ;   in Loop: Header=BB3_8 Depth=1
	v_subrev_f32_e32 v15, s11, v5
	s_mov_b32 s12, exec_lo
	s_delay_alu instid0(VALU_DEP_1) | instskip(NEXT) | instid1(VALU_DEP_1)
	v_fma_f32 v15, v14, v15, s10
	v_cmpx_lt_f32_e32 v4, v15
; %bb.14:                               ;   in Loop: Header=BB3_8 Depth=1
	v_cmp_eq_u32_e32 vcc_lo, 0, v12
	s_wait_alu 0xfffd
	v_cndmask_b32_e64 v12, 0, 1, vcc_lo
; %bb.15:                               ;   in Loop: Header=BB3_8 Depth=1
	s_wait_alu 0xfffe
	s_or_b32 exec_lo, exec_lo, s12
.LBB3_16:                               ;   in Loop: Header=BB3_8 Depth=1
	s_wait_alu 0xfffe
	s_or_b32 exec_lo, exec_lo, s1
	v_cmp_gt_f32_e32 vcc_lo, s11, v7
	v_cmp_ngt_f32_e64 s1, s13, v7
	s_xor_b32 s1, vcc_lo, s1
	s_wait_alu 0xfffe
	s_xor_b32 s12, s1, -1
	s_wait_alu 0xfffe
	s_and_saveexec_b32 s1, s12
	s_cbranch_execz .LBB3_20
; %bb.17:                               ;   in Loop: Header=BB3_8 Depth=1
	v_subrev_f32_e32 v15, s11, v7
	s_mov_b32 s12, exec_lo
	s_delay_alu instid0(VALU_DEP_1) | instskip(NEXT) | instid1(VALU_DEP_1)
	v_fma_f32 v15, v14, v15, s10
	v_cmpx_lt_f32_e32 v6, v15
; %bb.18:                               ;   in Loop: Header=BB3_8 Depth=1
	v_cmp_eq_u32_e32 vcc_lo, 0, v11
	s_wait_alu 0xfffd
	v_cndmask_b32_e64 v11, 0, 1, vcc_lo
; %bb.19:                               ;   in Loop: Header=BB3_8 Depth=1
	s_wait_alu 0xfffe
	s_or_b32 exec_lo, exec_lo, s12
.LBB3_20:                               ;   in Loop: Header=BB3_8 Depth=1
	;; [unrolled: 24-line block ×3, first 2 shown]
	s_wait_alu 0xfffe
	s_or_b32 exec_lo, exec_lo, s1
	s_add_nc_u64 s[8:9], s[8:9], 8
	s_wait_alu 0xfffe
	s_cmp_lg_u32 s8, 0x12c0
	s_cbranch_scc0 .LBB3_26
; %bb.25:                               ;   in Loop: Header=BB3_8 Depth=1
	s_mov_b32 s13, s11
	s_branch .LBB3_8
.LBB3_26:
	v_lshlrev_b64_e32 v[0:1], 2, v[0:1]
	s_delay_alu instid0(VALU_DEP_1) | instskip(SKIP_1) | instid1(VALU_DEP_2)
	v_add_co_u32 v0, vcc_lo, s6, v0
	s_wait_alu 0xfffd
	v_add_co_ci_u32_e64 v1, null, s7, v1, vcc_lo
	global_store_b32 v[0:1], v13, off
	s_and_saveexec_b32 s1, s2
	s_cbranch_execnz .LBB3_31
; %bb.27:
	s_wait_alu 0xfffe
	s_or_b32 exec_lo, exec_lo, s1
	s_and_saveexec_b32 s1, s3
	s_cbranch_execnz .LBB3_32
.LBB3_28:
	s_wait_alu 0xfffe
	s_or_b32 exec_lo, exec_lo, s1
	s_delay_alu instid0(SALU_CYCLE_1)
	s_and_b32 exec_lo, exec_lo, s0
	s_cbranch_execz .LBB3_30
.LBB3_29:
	global_store_b32 v[0:1], v10, off offset:3072
.LBB3_30:
	s_endpgm
.LBB3_31:
	global_store_b32 v[0:1], v12, off offset:1024
	s_wait_alu 0xfffe
	s_or_b32 exec_lo, exec_lo, s1
	s_and_saveexec_b32 s1, s3
	s_cbranch_execz .LBB3_28
.LBB3_32:
	global_store_b32 v[0:1], v11, off offset:2048
	s_wait_alu 0xfffe
	s_or_b32 exec_lo, exec_lo, s1
	s_delay_alu instid0(SALU_CYCLE_1)
	s_and_b32 exec_lo, exec_lo, s0
	s_cbranch_execnz .LBB3_29
	s_branch .LBB3_30
	.section	.rodata,"a",@progbits
	.p2align	6, 0x0
	.amdhsa_kernel _Z10pnpoly_optILi4EEvPiPK15HIP_vector_typeIfLj2EES4_i
		.amdhsa_group_segment_fixed_size 0
		.amdhsa_private_segment_fixed_size 0
		.amdhsa_kernarg_size 28
		.amdhsa_user_sgpr_count 2
		.amdhsa_user_sgpr_dispatch_ptr 0
		.amdhsa_user_sgpr_queue_ptr 0
		.amdhsa_user_sgpr_kernarg_segment_ptr 1
		.amdhsa_user_sgpr_dispatch_id 0
		.amdhsa_user_sgpr_private_segment_size 0
		.amdhsa_wavefront_size32 1
		.amdhsa_uses_dynamic_stack 0
		.amdhsa_enable_private_segment 0
		.amdhsa_system_sgpr_workgroup_id_x 1
		.amdhsa_system_sgpr_workgroup_id_y 0
		.amdhsa_system_sgpr_workgroup_id_z 0
		.amdhsa_system_sgpr_workgroup_info 0
		.amdhsa_system_vgpr_workitem_id 0
		.amdhsa_next_free_vgpr 19
		.amdhsa_next_free_sgpr 16
		.amdhsa_reserve_vcc 1
		.amdhsa_float_round_mode_32 0
		.amdhsa_float_round_mode_16_64 0
		.amdhsa_float_denorm_mode_32 3
		.amdhsa_float_denorm_mode_16_64 3
		.amdhsa_fp16_overflow 0
		.amdhsa_workgroup_processor_mode 1
		.amdhsa_memory_ordered 1
		.amdhsa_forward_progress 1
		.amdhsa_inst_pref_size 8
		.amdhsa_round_robin_scheduling 0
		.amdhsa_exception_fp_ieee_invalid_op 0
		.amdhsa_exception_fp_denorm_src 0
		.amdhsa_exception_fp_ieee_div_zero 0
		.amdhsa_exception_fp_ieee_overflow 0
		.amdhsa_exception_fp_ieee_underflow 0
		.amdhsa_exception_fp_ieee_inexact 0
		.amdhsa_exception_int_div_zero 0
	.end_amdhsa_kernel
	.section	.text._Z10pnpoly_optILi4EEvPiPK15HIP_vector_typeIfLj2EES4_i,"axG",@progbits,_Z10pnpoly_optILi4EEvPiPK15HIP_vector_typeIfLj2EES4_i,comdat
.Lfunc_end3:
	.size	_Z10pnpoly_optILi4EEvPiPK15HIP_vector_typeIfLj2EES4_i, .Lfunc_end3-_Z10pnpoly_optILi4EEvPiPK15HIP_vector_typeIfLj2EES4_i
                                        ; -- End function
	.set _Z10pnpoly_optILi4EEvPiPK15HIP_vector_typeIfLj2EES4_i.num_vgpr, 19
	.set _Z10pnpoly_optILi4EEvPiPK15HIP_vector_typeIfLj2EES4_i.num_agpr, 0
	.set _Z10pnpoly_optILi4EEvPiPK15HIP_vector_typeIfLj2EES4_i.numbered_sgpr, 16
	.set _Z10pnpoly_optILi4EEvPiPK15HIP_vector_typeIfLj2EES4_i.num_named_barrier, 0
	.set _Z10pnpoly_optILi4EEvPiPK15HIP_vector_typeIfLj2EES4_i.private_seg_size, 0
	.set _Z10pnpoly_optILi4EEvPiPK15HIP_vector_typeIfLj2EES4_i.uses_vcc, 1
	.set _Z10pnpoly_optILi4EEvPiPK15HIP_vector_typeIfLj2EES4_i.uses_flat_scratch, 0
	.set _Z10pnpoly_optILi4EEvPiPK15HIP_vector_typeIfLj2EES4_i.has_dyn_sized_stack, 0
	.set _Z10pnpoly_optILi4EEvPiPK15HIP_vector_typeIfLj2EES4_i.has_recursion, 0
	.set _Z10pnpoly_optILi4EEvPiPK15HIP_vector_typeIfLj2EES4_i.has_indirect_call, 0
	.section	.AMDGPU.csdata,"",@progbits
; Kernel info:
; codeLenInByte = 996
; TotalNumSgprs: 18
; NumVgprs: 19
; ScratchSize: 0
; MemoryBound: 0
; FloatMode: 240
; IeeeMode: 1
; LDSByteSize: 0 bytes/workgroup (compile time only)
; SGPRBlocks: 0
; VGPRBlocks: 2
; NumSGPRsForWavesPerEU: 18
; NumVGPRsForWavesPerEU: 19
; Occupancy: 16
; WaveLimiterHint : 0
; COMPUTE_PGM_RSRC2:SCRATCH_EN: 0
; COMPUTE_PGM_RSRC2:USER_SGPR: 2
; COMPUTE_PGM_RSRC2:TRAP_HANDLER: 0
; COMPUTE_PGM_RSRC2:TGID_X_EN: 1
; COMPUTE_PGM_RSRC2:TGID_Y_EN: 0
; COMPUTE_PGM_RSRC2:TGID_Z_EN: 0
; COMPUTE_PGM_RSRC2:TIDIG_COMP_CNT: 0
	.section	.text._Z10pnpoly_optILi8EEvPiPK15HIP_vector_typeIfLj2EES4_i,"axG",@progbits,_Z10pnpoly_optILi8EEvPiPK15HIP_vector_typeIfLj2EES4_i,comdat
	.protected	_Z10pnpoly_optILi8EEvPiPK15HIP_vector_typeIfLj2EES4_i ; -- Begin function _Z10pnpoly_optILi8EEvPiPK15HIP_vector_typeIfLj2EES4_i
	.globl	_Z10pnpoly_optILi8EEvPiPK15HIP_vector_typeIfLj2EES4_i
	.p2align	8
	.type	_Z10pnpoly_optILi8EEvPiPK15HIP_vector_typeIfLj2EES4_i,@function
_Z10pnpoly_optILi8EEvPiPK15HIP_vector_typeIfLj2EES4_i: ; @_Z10pnpoly_optILi8EEvPiPK15HIP_vector_typeIfLj2EES4_i
; %bb.0:
	s_load_b32 s12, s[0:1], 0x18
	v_lshl_or_b32 v0, ttmp9, 11, v0
	s_mov_b32 s2, exec_lo
	s_wait_kmcnt 0x0
	s_delay_alu instid0(VALU_DEP_1)
	v_cmpx_gt_i32_e64 s12, v0
	s_cbranch_execz .LBB4_58
; %bb.1:
	s_load_b64 s[2:3], s[0:1], 0x8
	v_ashrrev_i32_e32 v1, 31, v0
	v_add_nc_u32_e32 v4, 0x100, v0
	s_delay_alu instid0(VALU_DEP_2) | instskip(SKIP_1) | instid1(VALU_DEP_1)
	v_lshlrev_b64_e32 v[2:3], 3, v[0:1]
	s_wait_kmcnt 0x0
	v_add_co_u32 v18, vcc_lo, s2, v2
	s_delay_alu instid0(VALU_DEP_1)
	v_add_co_ci_u32_e64 v19, null, s3, v3, vcc_lo
	v_cmp_gt_i32_e64 s2, s12, v4
                                        ; implicit-def: $vgpr5
	global_load_b64 v[2:3], v[18:19], off
	s_and_saveexec_b32 s3, s2
	s_cbranch_execz .LBB4_3
; %bb.2:
	global_load_b64 v[4:5], v[18:19], off offset:2048
.LBB4_3:
	s_wait_alu 0xfffe
	s_or_b32 exec_lo, exec_lo, s3
	v_add_nc_u32_e32 v6, 0x200, v0
	s_delay_alu instid0(VALU_DEP_1)
	v_cmp_gt_i32_e64 s3, s12, v6
                                        ; implicit-def: $vgpr7
	s_and_saveexec_b32 s4, s3
	s_cbranch_execz .LBB4_5
; %bb.4:
	global_load_b64 v[6:7], v[18:19], off offset:4096
.LBB4_5:
	s_or_b32 exec_lo, exec_lo, s4
	v_add_nc_u32_e32 v8, 0x300, v0
	s_delay_alu instid0(VALU_DEP_1)
	v_cmp_gt_i32_e64 s4, s12, v8
                                        ; implicit-def: $vgpr9
	s_and_saveexec_b32 s5, s4
	s_cbranch_execz .LBB4_7
; %bb.6:
	global_load_b64 v[8:9], v[18:19], off offset:6144
.LBB4_7:
	s_or_b32 exec_lo, exec_lo, s5
	v_or_b32_e32 v10, 0x400, v0
	s_delay_alu instid0(VALU_DEP_1)
	v_cmp_gt_i32_e64 s5, s12, v10
                                        ; implicit-def: $vgpr11
	s_and_saveexec_b32 s6, s5
	s_cbranch_execz .LBB4_9
; %bb.8:
	global_load_b64 v[10:11], v[18:19], off offset:8192
.LBB4_9:
	s_or_b32 exec_lo, exec_lo, s6
	v_add_nc_u32_e32 v12, 0x500, v0
	s_delay_alu instid0(VALU_DEP_1)
	v_cmp_gt_i32_e64 s6, s12, v12
                                        ; implicit-def: $vgpr13
	s_and_saveexec_b32 s7, s6
	s_cbranch_execz .LBB4_11
; %bb.10:
	global_load_b64 v[12:13], v[18:19], off offset:10240
.LBB4_11:
	s_or_b32 exec_lo, exec_lo, s7
	s_load_b64 s[8:9], s[0:1], 0x10
	v_add_nc_u32_e32 v14, 0x600, v0
	s_delay_alu instid0(VALU_DEP_1)
	v_cmp_gt_i32_e64 s7, s12, v14
                                        ; implicit-def: $vgpr15
	s_and_saveexec_b32 s10, s7
	s_cbranch_execz .LBB4_13
; %bb.12:
	global_load_b64 v[14:15], v[18:19], off offset:12288
.LBB4_13:
	s_or_b32 exec_lo, exec_lo, s10
	s_load_b64 s[10:11], s[0:1], 0x0
	v_add_nc_u32_e32 v16, 0x700, v0
	s_delay_alu instid0(VALU_DEP_1)
	v_cmp_gt_i32_e64 s0, s12, v16
                                        ; implicit-def: $vgpr17
	s_and_saveexec_b32 s1, s0
	s_cbranch_execz .LBB4_15
; %bb.14:
	global_load_b64 v[16:17], v[18:19], off offset:14336
.LBB4_15:
	s_wait_alu 0xfffe
	s_or_b32 exec_lo, exec_lo, s1
	s_wait_kmcnt 0x0
	s_load_b64 s[16:17], s[8:9], 0x12b8
	v_mov_b32_e32 v25, 0
	s_mov_b64 s[12:13], 0
	s_delay_alu instid0(VALU_DEP_1)
	v_dual_mov_b32 v24, v25 :: v_dual_mov_b32 v23, v25
	v_dual_mov_b32 v22, v25 :: v_dual_mov_b32 v21, v25
	;; [unrolled: 1-line block ×3, first 2 shown]
	v_mov_b32_e32 v18, v25
	s_wait_kmcnt 0x0
	s_mov_b32 s14, s16
.LBB4_16:                               ; =>This Inner Loop Header: Depth=1
	s_wait_alu 0xfffe
	s_add_nc_u64 s[18:19], s[8:9], s[12:13]
	s_mov_b32 s1, s14
	s_load_b64 s[14:15], s[18:19], 0x0
	s_wait_kmcnt 0x0
	s_sub_f32 s16, s1, s14
	s_sub_f32 s18, s17, s15
	s_wait_loadcnt 0x0
	v_cmp_ngt_f32_e64 s1, s17, v3
	s_wait_alu 0xfffe
	v_div_scale_f32 v26, null, s18, s18, s16
	v_div_scale_f32 v29, vcc_lo, s16, s18, s16
	s_delay_alu instid0(VALU_DEP_2)
	v_rcp_f32_e32 v27, v26
	v_xor_b32_e32 v26, 0x80000000, v26
	s_delay_alu instid0(TRANS32_DEP_1) | instid1(VALU_DEP_1)
	v_fma_f32 v28, v26, v27, 1.0
	s_delay_alu instid0(VALU_DEP_1) | instskip(NEXT) | instid1(VALU_DEP_1)
	v_fmac_f32_e32 v27, v28, v27
	v_mul_f32_e32 v28, v29, v27
	s_delay_alu instid0(VALU_DEP_1) | instskip(NEXT) | instid1(VALU_DEP_1)
	v_fma_f32 v30, v26, v28, v29
	v_fmac_f32_e32 v28, v30, v27
	s_delay_alu instid0(VALU_DEP_1) | instskip(SKIP_1) | instid1(VALU_DEP_1)
	v_fmac_f32_e32 v29, v26, v28
	s_wait_alu 0xfffd
	v_div_fmas_f32 v26, v29, v27, v28
	v_cmp_gt_f32_e32 vcc_lo, s15, v3
	s_delay_alu instid0(VALU_DEP_2)
	v_div_fixup_f32 v26, v26, s18, s16
	s_xor_b32 s1, vcc_lo, s1
	s_wait_alu 0xfffe
	s_xor_b32 s16, s1, -1
	s_wait_alu 0xfffe
	s_and_saveexec_b32 s1, s16
	s_cbranch_execz .LBB4_20
; %bb.17:                               ;   in Loop: Header=BB4_16 Depth=1
	v_subrev_f32_e32 v27, s15, v3
	s_mov_b32 s16, exec_lo
	s_delay_alu instid0(VALU_DEP_1) | instskip(NEXT) | instid1(VALU_DEP_1)
	v_fma_f32 v27, v26, v27, s14
	v_cmpx_lt_f32_e32 v2, v27
; %bb.18:                               ;   in Loop: Header=BB4_16 Depth=1
	v_cmp_eq_u32_e32 vcc_lo, 0, v25
	s_wait_alu 0xfffd
	v_cndmask_b32_e64 v25, 0, 1, vcc_lo
; %bb.19:                               ;   in Loop: Header=BB4_16 Depth=1
	s_wait_alu 0xfffe
	s_or_b32 exec_lo, exec_lo, s16
.LBB4_20:                               ;   in Loop: Header=BB4_16 Depth=1
	s_wait_alu 0xfffe
	s_or_b32 exec_lo, exec_lo, s1
	v_cmp_gt_f32_e32 vcc_lo, s15, v5
	v_cmp_ngt_f32_e64 s1, s17, v5
	s_xor_b32 s1, vcc_lo, s1
	s_wait_alu 0xfffe
	s_xor_b32 s16, s1, -1
	s_wait_alu 0xfffe
	s_and_saveexec_b32 s1, s16
	s_cbranch_execz .LBB4_24
; %bb.21:                               ;   in Loop: Header=BB4_16 Depth=1
	v_subrev_f32_e32 v27, s15, v5
	s_mov_b32 s16, exec_lo
	s_delay_alu instid0(VALU_DEP_1) | instskip(NEXT) | instid1(VALU_DEP_1)
	v_fma_f32 v27, v26, v27, s14
	v_cmpx_lt_f32_e32 v4, v27
; %bb.22:                               ;   in Loop: Header=BB4_16 Depth=1
	v_cmp_eq_u32_e32 vcc_lo, 0, v24
	s_wait_alu 0xfffd
	v_cndmask_b32_e64 v24, 0, 1, vcc_lo
; %bb.23:                               ;   in Loop: Header=BB4_16 Depth=1
	s_wait_alu 0xfffe
	s_or_b32 exec_lo, exec_lo, s16
.LBB4_24:                               ;   in Loop: Header=BB4_16 Depth=1
	s_wait_alu 0xfffe
	s_or_b32 exec_lo, exec_lo, s1
	v_cmp_gt_f32_e32 vcc_lo, s15, v7
	v_cmp_ngt_f32_e64 s1, s17, v7
	;; [unrolled: 24-line block ×7, first 2 shown]
	s_xor_b32 s1, vcc_lo, s1
	s_wait_alu 0xfffe
	s_xor_b32 s16, s1, -1
	s_wait_alu 0xfffe
	s_and_saveexec_b32 s1, s16
	s_cbranch_execz .LBB4_48
; %bb.45:                               ;   in Loop: Header=BB4_16 Depth=1
	v_subrev_f32_e32 v27, s15, v17
	s_mov_b32 s16, exec_lo
	s_delay_alu instid0(VALU_DEP_1) | instskip(NEXT) | instid1(VALU_DEP_1)
	v_fma_f32 v26, v26, v27, s14
	v_cmpx_lt_f32_e32 v16, v26
; %bb.46:                               ;   in Loop: Header=BB4_16 Depth=1
	v_cmp_eq_u32_e32 vcc_lo, 0, v18
	s_wait_alu 0xfffd
	v_cndmask_b32_e64 v18, 0, 1, vcc_lo
; %bb.47:                               ;   in Loop: Header=BB4_16 Depth=1
	s_wait_alu 0xfffe
	s_or_b32 exec_lo, exec_lo, s16
.LBB4_48:                               ;   in Loop: Header=BB4_16 Depth=1
	s_wait_alu 0xfffe
	s_or_b32 exec_lo, exec_lo, s1
	s_add_nc_u64 s[12:13], s[12:13], 8
	s_wait_alu 0xfffe
	s_cmp_lg_u32 s12, 0x12c0
	s_cbranch_scc0 .LBB4_50
; %bb.49:                               ;   in Loop: Header=BB4_16 Depth=1
	s_mov_b32 s17, s15
	s_branch .LBB4_16
.LBB4_50:
	v_lshlrev_b64_e32 v[0:1], 2, v[0:1]
	s_delay_alu instid0(VALU_DEP_1) | instskip(SKIP_1) | instid1(VALU_DEP_2)
	v_add_co_u32 v0, vcc_lo, s10, v0
	s_wait_alu 0xfffd
	v_add_co_ci_u32_e64 v1, null, s11, v1, vcc_lo
	global_store_b32 v[0:1], v25, off
	s_and_saveexec_b32 s1, s2
	s_cbranch_execnz .LBB4_59
; %bb.51:
	s_wait_alu 0xfffe
	s_or_b32 exec_lo, exec_lo, s1
	s_and_saveexec_b32 s1, s3
	s_cbranch_execnz .LBB4_60
.LBB4_52:
	s_wait_alu 0xfffe
	s_or_b32 exec_lo, exec_lo, s1
	s_and_saveexec_b32 s1, s4
	s_cbranch_execnz .LBB4_61
.LBB4_53:
	s_wait_alu 0xfffe
	s_or_b32 exec_lo, exec_lo, s1
	s_and_saveexec_b32 s1, s5
	s_cbranch_execnz .LBB4_62
.LBB4_54:
	s_wait_alu 0xfffe
	s_or_b32 exec_lo, exec_lo, s1
	s_and_saveexec_b32 s1, s6
	s_cbranch_execnz .LBB4_63
.LBB4_55:
	s_wait_alu 0xfffe
	s_or_b32 exec_lo, exec_lo, s1
	s_and_saveexec_b32 s1, s7
	s_cbranch_execnz .LBB4_64
.LBB4_56:
	s_wait_alu 0xfffe
	s_or_b32 exec_lo, exec_lo, s1
	s_delay_alu instid0(SALU_CYCLE_1)
	s_and_b32 exec_lo, exec_lo, s0
	s_cbranch_execz .LBB4_58
.LBB4_57:
	global_store_b32 v[0:1], v18, off offset:7168
.LBB4_58:
	s_endpgm
.LBB4_59:
	global_store_b32 v[0:1], v24, off offset:1024
	s_wait_alu 0xfffe
	s_or_b32 exec_lo, exec_lo, s1
	s_and_saveexec_b32 s1, s3
	s_cbranch_execz .LBB4_52
.LBB4_60:
	global_store_b32 v[0:1], v23, off offset:2048
	s_wait_alu 0xfffe
	s_or_b32 exec_lo, exec_lo, s1
	s_and_saveexec_b32 s1, s4
	s_cbranch_execz .LBB4_53
.LBB4_61:
	global_store_b32 v[0:1], v22, off offset:3072
	s_wait_alu 0xfffe
	s_or_b32 exec_lo, exec_lo, s1
	s_and_saveexec_b32 s1, s5
	s_cbranch_execz .LBB4_54
.LBB4_62:
	global_store_b32 v[0:1], v21, off offset:4096
	s_wait_alu 0xfffe
	s_or_b32 exec_lo, exec_lo, s1
	s_and_saveexec_b32 s1, s6
	s_cbranch_execz .LBB4_55
.LBB4_63:
	global_store_b32 v[0:1], v20, off offset:5120
	s_wait_alu 0xfffe
	s_or_b32 exec_lo, exec_lo, s1
	s_and_saveexec_b32 s1, s7
	s_cbranch_execz .LBB4_56
.LBB4_64:
	global_store_b32 v[0:1], v19, off offset:6144
	s_wait_alu 0xfffe
	s_or_b32 exec_lo, exec_lo, s1
	s_delay_alu instid0(SALU_CYCLE_1)
	s_and_b32 exec_lo, exec_lo, s0
	s_cbranch_execnz .LBB4_57
	s_branch .LBB4_58
	.section	.rodata,"a",@progbits
	.p2align	6, 0x0
	.amdhsa_kernel _Z10pnpoly_optILi8EEvPiPK15HIP_vector_typeIfLj2EES4_i
		.amdhsa_group_segment_fixed_size 0
		.amdhsa_private_segment_fixed_size 0
		.amdhsa_kernarg_size 28
		.amdhsa_user_sgpr_count 2
		.amdhsa_user_sgpr_dispatch_ptr 0
		.amdhsa_user_sgpr_queue_ptr 0
		.amdhsa_user_sgpr_kernarg_segment_ptr 1
		.amdhsa_user_sgpr_dispatch_id 0
		.amdhsa_user_sgpr_private_segment_size 0
		.amdhsa_wavefront_size32 1
		.amdhsa_uses_dynamic_stack 0
		.amdhsa_enable_private_segment 0
		.amdhsa_system_sgpr_workgroup_id_x 1
		.amdhsa_system_sgpr_workgroup_id_y 0
		.amdhsa_system_sgpr_workgroup_id_z 0
		.amdhsa_system_sgpr_workgroup_info 0
		.amdhsa_system_vgpr_workitem_id 0
		.amdhsa_next_free_vgpr 31
		.amdhsa_next_free_sgpr 20
		.amdhsa_reserve_vcc 1
		.amdhsa_float_round_mode_32 0
		.amdhsa_float_round_mode_16_64 0
		.amdhsa_float_denorm_mode_32 3
		.amdhsa_float_denorm_mode_16_64 3
		.amdhsa_fp16_overflow 0
		.amdhsa_workgroup_processor_mode 1
		.amdhsa_memory_ordered 1
		.amdhsa_forward_progress 1
		.amdhsa_inst_pref_size 14
		.amdhsa_round_robin_scheduling 0
		.amdhsa_exception_fp_ieee_invalid_op 0
		.amdhsa_exception_fp_denorm_src 0
		.amdhsa_exception_fp_ieee_div_zero 0
		.amdhsa_exception_fp_ieee_overflow 0
		.amdhsa_exception_fp_ieee_underflow 0
		.amdhsa_exception_fp_ieee_inexact 0
		.amdhsa_exception_int_div_zero 0
	.end_amdhsa_kernel
	.section	.text._Z10pnpoly_optILi8EEvPiPK15HIP_vector_typeIfLj2EES4_i,"axG",@progbits,_Z10pnpoly_optILi8EEvPiPK15HIP_vector_typeIfLj2EES4_i,comdat
.Lfunc_end4:
	.size	_Z10pnpoly_optILi8EEvPiPK15HIP_vector_typeIfLj2EES4_i, .Lfunc_end4-_Z10pnpoly_optILi8EEvPiPK15HIP_vector_typeIfLj2EES4_i
                                        ; -- End function
	.set _Z10pnpoly_optILi8EEvPiPK15HIP_vector_typeIfLj2EES4_i.num_vgpr, 31
	.set _Z10pnpoly_optILi8EEvPiPK15HIP_vector_typeIfLj2EES4_i.num_agpr, 0
	.set _Z10pnpoly_optILi8EEvPiPK15HIP_vector_typeIfLj2EES4_i.numbered_sgpr, 20
	.set _Z10pnpoly_optILi8EEvPiPK15HIP_vector_typeIfLj2EES4_i.num_named_barrier, 0
	.set _Z10pnpoly_optILi8EEvPiPK15HIP_vector_typeIfLj2EES4_i.private_seg_size, 0
	.set _Z10pnpoly_optILi8EEvPiPK15HIP_vector_typeIfLj2EES4_i.uses_vcc, 1
	.set _Z10pnpoly_optILi8EEvPiPK15HIP_vector_typeIfLj2EES4_i.uses_flat_scratch, 0
	.set _Z10pnpoly_optILi8EEvPiPK15HIP_vector_typeIfLj2EES4_i.has_dyn_sized_stack, 0
	.set _Z10pnpoly_optILi8EEvPiPK15HIP_vector_typeIfLj2EES4_i.has_recursion, 0
	.set _Z10pnpoly_optILi8EEvPiPK15HIP_vector_typeIfLj2EES4_i.has_indirect_call, 0
	.section	.AMDGPU.csdata,"",@progbits
; Kernel info:
; codeLenInByte = 1732
; TotalNumSgprs: 22
; NumVgprs: 31
; ScratchSize: 0
; MemoryBound: 0
; FloatMode: 240
; IeeeMode: 1
; LDSByteSize: 0 bytes/workgroup (compile time only)
; SGPRBlocks: 0
; VGPRBlocks: 3
; NumSGPRsForWavesPerEU: 22
; NumVGPRsForWavesPerEU: 31
; Occupancy: 16
; WaveLimiterHint : 0
; COMPUTE_PGM_RSRC2:SCRATCH_EN: 0
; COMPUTE_PGM_RSRC2:USER_SGPR: 2
; COMPUTE_PGM_RSRC2:TRAP_HANDLER: 0
; COMPUTE_PGM_RSRC2:TGID_X_EN: 1
; COMPUTE_PGM_RSRC2:TGID_Y_EN: 0
; COMPUTE_PGM_RSRC2:TGID_Z_EN: 0
; COMPUTE_PGM_RSRC2:TIDIG_COMP_CNT: 0
	.section	.text._Z10pnpoly_optILi16EEvPiPK15HIP_vector_typeIfLj2EES4_i,"axG",@progbits,_Z10pnpoly_optILi16EEvPiPK15HIP_vector_typeIfLj2EES4_i,comdat
	.protected	_Z10pnpoly_optILi16EEvPiPK15HIP_vector_typeIfLj2EES4_i ; -- Begin function _Z10pnpoly_optILi16EEvPiPK15HIP_vector_typeIfLj2EES4_i
	.globl	_Z10pnpoly_optILi16EEvPiPK15HIP_vector_typeIfLj2EES4_i
	.p2align	8
	.type	_Z10pnpoly_optILi16EEvPiPK15HIP_vector_typeIfLj2EES4_i,@function
_Z10pnpoly_optILi16EEvPiPK15HIP_vector_typeIfLj2EES4_i: ; @_Z10pnpoly_optILi16EEvPiPK15HIP_vector_typeIfLj2EES4_i
; %bb.0:
	s_load_b32 s20, s[0:1], 0x18
	v_lshl_or_b32 v0, ttmp9, 12, v0
	s_mov_b32 s2, exec_lo
	s_wait_kmcnt 0x0
	s_delay_alu instid0(VALU_DEP_1)
	v_cmpx_gt_i32_e64 s20, v0
	s_cbranch_execz .LBB5_114
; %bb.1:
	s_load_b64 s[2:3], s[0:1], 0x8
	v_ashrrev_i32_e32 v1, 31, v0
	v_add_nc_u32_e32 v4, 0x100, v0
	s_delay_alu instid0(VALU_DEP_2) | instskip(SKIP_1) | instid1(VALU_DEP_1)
	v_lshlrev_b64_e32 v[2:3], 3, v[0:1]
	s_wait_kmcnt 0x0
	v_add_co_u32 v34, vcc_lo, s2, v2
	s_delay_alu instid0(VALU_DEP_1)
	v_add_co_ci_u32_e64 v35, null, s3, v3, vcc_lo
	v_cmp_gt_i32_e64 s2, s20, v4
                                        ; implicit-def: $vgpr5
	global_load_b64 v[2:3], v[34:35], off
	s_and_saveexec_b32 s3, s2
	s_cbranch_execz .LBB5_3
; %bb.2:
	global_load_b64 v[4:5], v[34:35], off offset:2048
.LBB5_3:
	s_wait_alu 0xfffe
	s_or_b32 exec_lo, exec_lo, s3
	v_add_nc_u32_e32 v6, 0x200, v0
	s_delay_alu instid0(VALU_DEP_1)
	v_cmp_gt_i32_e64 s3, s20, v6
                                        ; implicit-def: $vgpr7
	s_and_saveexec_b32 s4, s3
	s_cbranch_execz .LBB5_5
; %bb.4:
	global_load_b64 v[6:7], v[34:35], off offset:4096
.LBB5_5:
	s_or_b32 exec_lo, exec_lo, s4
	v_add_nc_u32_e32 v8, 0x300, v0
	s_delay_alu instid0(VALU_DEP_1)
	v_cmp_gt_i32_e64 s4, s20, v8
                                        ; implicit-def: $vgpr9
	s_and_saveexec_b32 s5, s4
	s_cbranch_execz .LBB5_7
; %bb.6:
	global_load_b64 v[8:9], v[34:35], off offset:6144
.LBB5_7:
	s_or_b32 exec_lo, exec_lo, s5
	v_or_b32_e32 v10, 0x400, v0
	s_delay_alu instid0(VALU_DEP_1)
	v_cmp_gt_i32_e64 s5, s20, v10
                                        ; implicit-def: $vgpr11
	s_and_saveexec_b32 s6, s5
	s_cbranch_execz .LBB5_9
; %bb.8:
	global_load_b64 v[10:11], v[34:35], off offset:8192
.LBB5_9:
	s_or_b32 exec_lo, exec_lo, s6
	v_add_nc_u32_e32 v12, 0x500, v0
	s_delay_alu instid0(VALU_DEP_1)
	v_cmp_gt_i32_e64 s6, s20, v12
                                        ; implicit-def: $vgpr13
	s_and_saveexec_b32 s7, s6
	s_cbranch_execz .LBB5_11
; %bb.10:
	global_load_b64 v[12:13], v[34:35], off offset:10240
.LBB5_11:
	s_or_b32 exec_lo, exec_lo, s7
	v_add_nc_u32_e32 v14, 0x600, v0
	s_delay_alu instid0(VALU_DEP_1)
	v_cmp_gt_i32_e64 s7, s20, v14
                                        ; implicit-def: $vgpr15
	s_and_saveexec_b32 s8, s7
	s_cbranch_execz .LBB5_13
; %bb.12:
	global_load_b64 v[14:15], v[34:35], off offset:12288
.LBB5_13:
	s_or_b32 exec_lo, exec_lo, s8
	v_add_nc_u32_e32 v16, 0x700, v0
	s_delay_alu instid0(VALU_DEP_1)
	v_cmp_gt_i32_e64 s8, s20, v16
                                        ; implicit-def: $vgpr17
	s_and_saveexec_b32 s9, s8
	s_cbranch_execz .LBB5_15
; %bb.14:
	global_load_b64 v[16:17], v[34:35], off offset:14336
.LBB5_15:
	s_or_b32 exec_lo, exec_lo, s9
	v_or_b32_e32 v18, 0x800, v0
	s_delay_alu instid0(VALU_DEP_1)
	v_cmp_gt_i32_e64 s9, s20, v18
                                        ; implicit-def: $vgpr19
	s_and_saveexec_b32 s10, s9
	s_cbranch_execz .LBB5_17
; %bb.16:
	global_load_b64 v[18:19], v[34:35], off offset:16384
.LBB5_17:
	s_or_b32 exec_lo, exec_lo, s10
	v_add_nc_u32_e32 v20, 0x900, v0
	s_delay_alu instid0(VALU_DEP_1)
	v_cmp_gt_i32_e64 s10, s20, v20
                                        ; implicit-def: $vgpr21
	s_and_saveexec_b32 s11, s10
	s_cbranch_execz .LBB5_19
; %bb.18:
	global_load_b64 v[20:21], v[34:35], off offset:18432
.LBB5_19:
	s_or_b32 exec_lo, exec_lo, s11
	v_add_nc_u32_e32 v22, 0xa00, v0
	s_delay_alu instid0(VALU_DEP_1)
	v_cmp_gt_i32_e64 s11, s20, v22
                                        ; implicit-def: $vgpr23
	s_and_saveexec_b32 s12, s11
	s_cbranch_execz .LBB5_21
; %bb.20:
	global_load_b64 v[22:23], v[34:35], off offset:20480
.LBB5_21:
	s_or_b32 exec_lo, exec_lo, s12
	v_add_nc_u32_e32 v24, 0xb00, v0
	s_delay_alu instid0(VALU_DEP_1)
	v_cmp_gt_i32_e64 s12, s20, v24
                                        ; implicit-def: $vgpr25
	s_and_saveexec_b32 s13, s12
	s_cbranch_execz .LBB5_23
; %bb.22:
	global_load_b64 v[24:25], v[34:35], off offset:22528
.LBB5_23:
	s_or_b32 exec_lo, exec_lo, s13
	v_or_b32_e32 v26, 0xc00, v0
	s_delay_alu instid0(VALU_DEP_1)
	v_cmp_gt_i32_e64 s13, s20, v26
                                        ; implicit-def: $vgpr27
	s_and_saveexec_b32 s14, s13
	s_cbranch_execz .LBB5_25
; %bb.24:
	global_load_b64 v[26:27], v[34:35], off offset:24576
.LBB5_25:
	s_or_b32 exec_lo, exec_lo, s14
	v_add_nc_u32_e32 v28, 0xd00, v0
	s_delay_alu instid0(VALU_DEP_1)
	v_cmp_gt_i32_e64 s14, s20, v28
                                        ; implicit-def: $vgpr29
	s_and_saveexec_b32 s15, s14
	s_cbranch_execz .LBB5_27
; %bb.26:
	global_load_b64 v[28:29], v[34:35], off offset:26624
.LBB5_27:
	s_or_b32 exec_lo, exec_lo, s15
	s_load_b64 s[16:17], s[0:1], 0x10
	v_add_nc_u32_e32 v30, 0xe00, v0
	s_delay_alu instid0(VALU_DEP_1)
	v_cmp_gt_i32_e64 s15, s20, v30
                                        ; implicit-def: $vgpr31
	s_and_saveexec_b32 s18, s15
	s_cbranch_execz .LBB5_29
; %bb.28:
	global_load_b64 v[30:31], v[34:35], off offset:28672
.LBB5_29:
	s_or_b32 exec_lo, exec_lo, s18
	s_load_b64 s[18:19], s[0:1], 0x0
	v_add_nc_u32_e32 v32, 0xf00, v0
	s_delay_alu instid0(VALU_DEP_1)
	v_cmp_gt_i32_e64 s0, s20, v32
                                        ; implicit-def: $vgpr33
	s_and_saveexec_b32 s1, s0
	s_cbranch_execz .LBB5_31
; %bb.30:
	global_load_b64 v[32:33], v[34:35], off offset:30720
.LBB5_31:
	s_wait_alu 0xfffe
	s_or_b32 exec_lo, exec_lo, s1
	s_wait_kmcnt 0x0
	s_load_b64 s[24:25], s[16:17], 0x12b8
	v_mov_b32_e32 v49, 0
	s_mov_b64 s[20:21], 0
	s_delay_alu instid0(VALU_DEP_1)
	v_dual_mov_b32 v48, v49 :: v_dual_mov_b32 v47, v49
	v_dual_mov_b32 v46, v49 :: v_dual_mov_b32 v45, v49
	;; [unrolled: 1-line block ×7, first 2 shown]
	v_mov_b32_e32 v34, v49
	s_wait_kmcnt 0x0
	s_mov_b32 s22, s24
.LBB5_32:                               ; =>This Inner Loop Header: Depth=1
	s_wait_alu 0xfffe
	s_add_nc_u64 s[26:27], s[16:17], s[20:21]
	s_mov_b32 s1, s22
	s_load_b64 s[22:23], s[26:27], 0x0
	s_wait_kmcnt 0x0
	s_sub_f32 s24, s1, s22
	s_sub_f32 s26, s25, s23
	s_wait_loadcnt 0x0
	v_cmp_ngt_f32_e64 s1, s25, v3
	s_wait_alu 0xfffe
	v_div_scale_f32 v50, null, s26, s26, s24
	v_div_scale_f32 v53, vcc_lo, s24, s26, s24
	s_delay_alu instid0(VALU_DEP_2)
	v_rcp_f32_e32 v51, v50
	v_xor_b32_e32 v50, 0x80000000, v50
	s_delay_alu instid0(TRANS32_DEP_1) | instid1(VALU_DEP_1)
	v_fma_f32 v52, v50, v51, 1.0
	s_delay_alu instid0(VALU_DEP_1) | instskip(NEXT) | instid1(VALU_DEP_1)
	v_fmac_f32_e32 v51, v52, v51
	v_mul_f32_e32 v52, v53, v51
	s_delay_alu instid0(VALU_DEP_1) | instskip(NEXT) | instid1(VALU_DEP_1)
	v_fma_f32 v54, v50, v52, v53
	v_fmac_f32_e32 v52, v54, v51
	s_delay_alu instid0(VALU_DEP_1) | instskip(SKIP_1) | instid1(VALU_DEP_1)
	v_fmac_f32_e32 v53, v50, v52
	s_wait_alu 0xfffd
	v_div_fmas_f32 v50, v53, v51, v52
	v_cmp_gt_f32_e32 vcc_lo, s23, v3
	s_delay_alu instid0(VALU_DEP_2)
	v_div_fixup_f32 v50, v50, s26, s24
	s_xor_b32 s1, vcc_lo, s1
	s_wait_alu 0xfffe
	s_xor_b32 s24, s1, -1
	s_wait_alu 0xfffe
	s_and_saveexec_b32 s1, s24
	s_cbranch_execz .LBB5_36
; %bb.33:                               ;   in Loop: Header=BB5_32 Depth=1
	v_subrev_f32_e32 v51, s23, v3
	s_mov_b32 s24, exec_lo
	s_delay_alu instid0(VALU_DEP_1) | instskip(NEXT) | instid1(VALU_DEP_1)
	v_fma_f32 v51, v50, v51, s22
	v_cmpx_lt_f32_e32 v2, v51
; %bb.34:                               ;   in Loop: Header=BB5_32 Depth=1
	v_cmp_eq_u32_e32 vcc_lo, 0, v49
	s_wait_alu 0xfffd
	v_cndmask_b32_e64 v49, 0, 1, vcc_lo
; %bb.35:                               ;   in Loop: Header=BB5_32 Depth=1
	s_wait_alu 0xfffe
	s_or_b32 exec_lo, exec_lo, s24
.LBB5_36:                               ;   in Loop: Header=BB5_32 Depth=1
	s_wait_alu 0xfffe
	s_or_b32 exec_lo, exec_lo, s1
	v_cmp_gt_f32_e32 vcc_lo, s23, v5
	v_cmp_ngt_f32_e64 s1, s25, v5
	s_xor_b32 s1, vcc_lo, s1
	s_wait_alu 0xfffe
	s_xor_b32 s24, s1, -1
	s_wait_alu 0xfffe
	s_and_saveexec_b32 s1, s24
	s_cbranch_execz .LBB5_40
; %bb.37:                               ;   in Loop: Header=BB5_32 Depth=1
	v_subrev_f32_e32 v51, s23, v5
	s_mov_b32 s24, exec_lo
	s_delay_alu instid0(VALU_DEP_1) | instskip(NEXT) | instid1(VALU_DEP_1)
	v_fma_f32 v51, v50, v51, s22
	v_cmpx_lt_f32_e32 v4, v51
; %bb.38:                               ;   in Loop: Header=BB5_32 Depth=1
	v_cmp_eq_u32_e32 vcc_lo, 0, v48
	s_wait_alu 0xfffd
	v_cndmask_b32_e64 v48, 0, 1, vcc_lo
; %bb.39:                               ;   in Loop: Header=BB5_32 Depth=1
	s_wait_alu 0xfffe
	s_or_b32 exec_lo, exec_lo, s24
.LBB5_40:                               ;   in Loop: Header=BB5_32 Depth=1
	s_wait_alu 0xfffe
	s_or_b32 exec_lo, exec_lo, s1
	v_cmp_gt_f32_e32 vcc_lo, s23, v7
	v_cmp_ngt_f32_e64 s1, s25, v7
	;; [unrolled: 24-line block ×15, first 2 shown]
	s_xor_b32 s1, vcc_lo, s1
	s_wait_alu 0xfffe
	s_xor_b32 s24, s1, -1
	s_wait_alu 0xfffe
	s_and_saveexec_b32 s1, s24
	s_cbranch_execz .LBB5_96
; %bb.93:                               ;   in Loop: Header=BB5_32 Depth=1
	v_subrev_f32_e32 v51, s23, v33
	s_mov_b32 s24, exec_lo
	s_delay_alu instid0(VALU_DEP_1) | instskip(NEXT) | instid1(VALU_DEP_1)
	v_fma_f32 v50, v50, v51, s22
	v_cmpx_lt_f32_e32 v32, v50
; %bb.94:                               ;   in Loop: Header=BB5_32 Depth=1
	v_cmp_eq_u32_e32 vcc_lo, 0, v34
	s_wait_alu 0xfffd
	v_cndmask_b32_e64 v34, 0, 1, vcc_lo
; %bb.95:                               ;   in Loop: Header=BB5_32 Depth=1
	s_wait_alu 0xfffe
	s_or_b32 exec_lo, exec_lo, s24
.LBB5_96:                               ;   in Loop: Header=BB5_32 Depth=1
	s_wait_alu 0xfffe
	s_or_b32 exec_lo, exec_lo, s1
	s_add_nc_u64 s[20:21], s[20:21], 8
	s_wait_alu 0xfffe
	s_cmp_lg_u32 s20, 0x12c0
	s_cbranch_scc0 .LBB5_98
; %bb.97:                               ;   in Loop: Header=BB5_32 Depth=1
	s_mov_b32 s25, s23
	s_branch .LBB5_32
.LBB5_98:
	v_lshlrev_b64_e32 v[0:1], 2, v[0:1]
	s_delay_alu instid0(VALU_DEP_1) | instskip(SKIP_1) | instid1(VALU_DEP_2)
	v_add_co_u32 v0, vcc_lo, s18, v0
	s_wait_alu 0xfffd
	v_add_co_ci_u32_e64 v1, null, s19, v1, vcc_lo
	global_store_b32 v[0:1], v49, off
	s_and_saveexec_b32 s1, s2
	s_cbranch_execnz .LBB5_115
; %bb.99:
	s_wait_alu 0xfffe
	s_or_b32 exec_lo, exec_lo, s1
	s_and_saveexec_b32 s1, s3
	s_cbranch_execnz .LBB5_116
.LBB5_100:
	s_wait_alu 0xfffe
	s_or_b32 exec_lo, exec_lo, s1
	s_and_saveexec_b32 s1, s4
	s_cbranch_execnz .LBB5_117
.LBB5_101:
	s_wait_alu 0xfffe
	s_or_b32 exec_lo, exec_lo, s1
	s_and_saveexec_b32 s1, s5
	s_cbranch_execnz .LBB5_118
.LBB5_102:
	s_wait_alu 0xfffe
	s_or_b32 exec_lo, exec_lo, s1
	s_and_saveexec_b32 s1, s6
	s_cbranch_execnz .LBB5_119
.LBB5_103:
	s_wait_alu 0xfffe
	s_or_b32 exec_lo, exec_lo, s1
	s_and_saveexec_b32 s1, s7
	s_cbranch_execnz .LBB5_120
.LBB5_104:
	s_wait_alu 0xfffe
	s_or_b32 exec_lo, exec_lo, s1
	s_and_saveexec_b32 s1, s8
	s_cbranch_execnz .LBB5_121
.LBB5_105:
	s_wait_alu 0xfffe
	s_or_b32 exec_lo, exec_lo, s1
	s_and_saveexec_b32 s1, s9
	s_cbranch_execnz .LBB5_122
.LBB5_106:
	s_wait_alu 0xfffe
	s_or_b32 exec_lo, exec_lo, s1
	s_and_saveexec_b32 s1, s10
	s_cbranch_execnz .LBB5_123
.LBB5_107:
	s_wait_alu 0xfffe
	s_or_b32 exec_lo, exec_lo, s1
	s_and_saveexec_b32 s1, s11
	s_cbranch_execnz .LBB5_124
.LBB5_108:
	s_wait_alu 0xfffe
	s_or_b32 exec_lo, exec_lo, s1
	s_and_saveexec_b32 s1, s12
	s_cbranch_execnz .LBB5_125
.LBB5_109:
	s_wait_alu 0xfffe
	s_or_b32 exec_lo, exec_lo, s1
	s_and_saveexec_b32 s1, s13
	s_cbranch_execnz .LBB5_126
.LBB5_110:
	s_wait_alu 0xfffe
	s_or_b32 exec_lo, exec_lo, s1
	s_and_saveexec_b32 s1, s14
	s_cbranch_execnz .LBB5_127
.LBB5_111:
	s_wait_alu 0xfffe
	s_or_b32 exec_lo, exec_lo, s1
	s_and_saveexec_b32 s1, s15
	s_cbranch_execnz .LBB5_128
.LBB5_112:
	s_wait_alu 0xfffe
	s_or_b32 exec_lo, exec_lo, s1
	s_delay_alu instid0(SALU_CYCLE_1)
	s_and_b32 exec_lo, exec_lo, s0
	s_cbranch_execz .LBB5_114
.LBB5_113:
	global_store_b32 v[0:1], v34, off offset:15360
.LBB5_114:
	s_endpgm
.LBB5_115:
	global_store_b32 v[0:1], v48, off offset:1024
	s_wait_alu 0xfffe
	s_or_b32 exec_lo, exec_lo, s1
	s_and_saveexec_b32 s1, s3
	s_cbranch_execz .LBB5_100
.LBB5_116:
	global_store_b32 v[0:1], v47, off offset:2048
	s_wait_alu 0xfffe
	s_or_b32 exec_lo, exec_lo, s1
	s_and_saveexec_b32 s1, s4
	s_cbranch_execz .LBB5_101
.LBB5_117:
	global_store_b32 v[0:1], v46, off offset:3072
	s_wait_alu 0xfffe
	s_or_b32 exec_lo, exec_lo, s1
	s_and_saveexec_b32 s1, s5
	s_cbranch_execz .LBB5_102
.LBB5_118:
	global_store_b32 v[0:1], v45, off offset:4096
	s_wait_alu 0xfffe
	s_or_b32 exec_lo, exec_lo, s1
	s_and_saveexec_b32 s1, s6
	s_cbranch_execz .LBB5_103
.LBB5_119:
	global_store_b32 v[0:1], v44, off offset:5120
	s_wait_alu 0xfffe
	s_or_b32 exec_lo, exec_lo, s1
	s_and_saveexec_b32 s1, s7
	s_cbranch_execz .LBB5_104
.LBB5_120:
	global_store_b32 v[0:1], v43, off offset:6144
	s_wait_alu 0xfffe
	s_or_b32 exec_lo, exec_lo, s1
	s_and_saveexec_b32 s1, s8
	s_cbranch_execz .LBB5_105
.LBB5_121:
	global_store_b32 v[0:1], v42, off offset:7168
	s_wait_alu 0xfffe
	s_or_b32 exec_lo, exec_lo, s1
	s_and_saveexec_b32 s1, s9
	s_cbranch_execz .LBB5_106
.LBB5_122:
	global_store_b32 v[0:1], v41, off offset:8192
	s_wait_alu 0xfffe
	s_or_b32 exec_lo, exec_lo, s1
	s_and_saveexec_b32 s1, s10
	s_cbranch_execz .LBB5_107
.LBB5_123:
	global_store_b32 v[0:1], v40, off offset:9216
	s_wait_alu 0xfffe
	s_or_b32 exec_lo, exec_lo, s1
	s_and_saveexec_b32 s1, s11
	s_cbranch_execz .LBB5_108
.LBB5_124:
	global_store_b32 v[0:1], v39, off offset:10240
	s_wait_alu 0xfffe
	s_or_b32 exec_lo, exec_lo, s1
	s_and_saveexec_b32 s1, s12
	s_cbranch_execz .LBB5_109
.LBB5_125:
	global_store_b32 v[0:1], v38, off offset:11264
	s_wait_alu 0xfffe
	s_or_b32 exec_lo, exec_lo, s1
	s_and_saveexec_b32 s1, s13
	s_cbranch_execz .LBB5_110
.LBB5_126:
	global_store_b32 v[0:1], v37, off offset:12288
	s_wait_alu 0xfffe
	s_or_b32 exec_lo, exec_lo, s1
	s_and_saveexec_b32 s1, s14
	s_cbranch_execz .LBB5_111
.LBB5_127:
	global_store_b32 v[0:1], v36, off offset:13312
	s_wait_alu 0xfffe
	s_or_b32 exec_lo, exec_lo, s1
	s_and_saveexec_b32 s1, s15
	s_cbranch_execz .LBB5_112
.LBB5_128:
	global_store_b32 v[0:1], v35, off offset:14336
	s_wait_alu 0xfffe
	s_or_b32 exec_lo, exec_lo, s1
	s_delay_alu instid0(SALU_CYCLE_1)
	s_and_b32 exec_lo, exec_lo, s0
	s_cbranch_execnz .LBB5_113
	s_branch .LBB5_114
	.section	.rodata,"a",@progbits
	.p2align	6, 0x0
	.amdhsa_kernel _Z10pnpoly_optILi16EEvPiPK15HIP_vector_typeIfLj2EES4_i
		.amdhsa_group_segment_fixed_size 0
		.amdhsa_private_segment_fixed_size 0
		.amdhsa_kernarg_size 28
		.amdhsa_user_sgpr_count 2
		.amdhsa_user_sgpr_dispatch_ptr 0
		.amdhsa_user_sgpr_queue_ptr 0
		.amdhsa_user_sgpr_kernarg_segment_ptr 1
		.amdhsa_user_sgpr_dispatch_id 0
		.amdhsa_user_sgpr_private_segment_size 0
		.amdhsa_wavefront_size32 1
		.amdhsa_uses_dynamic_stack 0
		.amdhsa_enable_private_segment 0
		.amdhsa_system_sgpr_workgroup_id_x 1
		.amdhsa_system_sgpr_workgroup_id_y 0
		.amdhsa_system_sgpr_workgroup_id_z 0
		.amdhsa_system_sgpr_workgroup_info 0
		.amdhsa_system_vgpr_workitem_id 0
		.amdhsa_next_free_vgpr 55
		.amdhsa_next_free_sgpr 28
		.amdhsa_reserve_vcc 1
		.amdhsa_float_round_mode_32 0
		.amdhsa_float_round_mode_16_64 0
		.amdhsa_float_denorm_mode_32 3
		.amdhsa_float_denorm_mode_16_64 3
		.amdhsa_fp16_overflow 0
		.amdhsa_workgroup_processor_mode 1
		.amdhsa_memory_ordered 1
		.amdhsa_forward_progress 1
		.amdhsa_inst_pref_size 26
		.amdhsa_round_robin_scheduling 0
		.amdhsa_exception_fp_ieee_invalid_op 0
		.amdhsa_exception_fp_denorm_src 0
		.amdhsa_exception_fp_ieee_div_zero 0
		.amdhsa_exception_fp_ieee_overflow 0
		.amdhsa_exception_fp_ieee_underflow 0
		.amdhsa_exception_fp_ieee_inexact 0
		.amdhsa_exception_int_div_zero 0
	.end_amdhsa_kernel
	.section	.text._Z10pnpoly_optILi16EEvPiPK15HIP_vector_typeIfLj2EES4_i,"axG",@progbits,_Z10pnpoly_optILi16EEvPiPK15HIP_vector_typeIfLj2EES4_i,comdat
.Lfunc_end5:
	.size	_Z10pnpoly_optILi16EEvPiPK15HIP_vector_typeIfLj2EES4_i, .Lfunc_end5-_Z10pnpoly_optILi16EEvPiPK15HIP_vector_typeIfLj2EES4_i
                                        ; -- End function
	.set _Z10pnpoly_optILi16EEvPiPK15HIP_vector_typeIfLj2EES4_i.num_vgpr, 55
	.set _Z10pnpoly_optILi16EEvPiPK15HIP_vector_typeIfLj2EES4_i.num_agpr, 0
	.set _Z10pnpoly_optILi16EEvPiPK15HIP_vector_typeIfLj2EES4_i.numbered_sgpr, 28
	.set _Z10pnpoly_optILi16EEvPiPK15HIP_vector_typeIfLj2EES4_i.num_named_barrier, 0
	.set _Z10pnpoly_optILi16EEvPiPK15HIP_vector_typeIfLj2EES4_i.private_seg_size, 0
	.set _Z10pnpoly_optILi16EEvPiPK15HIP_vector_typeIfLj2EES4_i.uses_vcc, 1
	.set _Z10pnpoly_optILi16EEvPiPK15HIP_vector_typeIfLj2EES4_i.uses_flat_scratch, 0
	.set _Z10pnpoly_optILi16EEvPiPK15HIP_vector_typeIfLj2EES4_i.has_dyn_sized_stack, 0
	.set _Z10pnpoly_optILi16EEvPiPK15HIP_vector_typeIfLj2EES4_i.has_recursion, 0
	.set _Z10pnpoly_optILi16EEvPiPK15HIP_vector_typeIfLj2EES4_i.has_indirect_call, 0
	.section	.AMDGPU.csdata,"",@progbits
; Kernel info:
; codeLenInByte = 3204
; TotalNumSgprs: 30
; NumVgprs: 55
; ScratchSize: 0
; MemoryBound: 0
; FloatMode: 240
; IeeeMode: 1
; LDSByteSize: 0 bytes/workgroup (compile time only)
; SGPRBlocks: 0
; VGPRBlocks: 6
; NumSGPRsForWavesPerEU: 30
; NumVGPRsForWavesPerEU: 55
; Occupancy: 16
; WaveLimiterHint : 0
; COMPUTE_PGM_RSRC2:SCRATCH_EN: 0
; COMPUTE_PGM_RSRC2:USER_SGPR: 2
; COMPUTE_PGM_RSRC2:TRAP_HANDLER: 0
; COMPUTE_PGM_RSRC2:TGID_X_EN: 1
; COMPUTE_PGM_RSRC2:TGID_Y_EN: 0
; COMPUTE_PGM_RSRC2:TGID_Z_EN: 0
; COMPUTE_PGM_RSRC2:TIDIG_COMP_CNT: 0
	.section	.text._Z10pnpoly_optILi32EEvPiPK15HIP_vector_typeIfLj2EES4_i,"axG",@progbits,_Z10pnpoly_optILi32EEvPiPK15HIP_vector_typeIfLj2EES4_i,comdat
	.protected	_Z10pnpoly_optILi32EEvPiPK15HIP_vector_typeIfLj2EES4_i ; -- Begin function _Z10pnpoly_optILi32EEvPiPK15HIP_vector_typeIfLj2EES4_i
	.globl	_Z10pnpoly_optILi32EEvPiPK15HIP_vector_typeIfLj2EES4_i
	.p2align	8
	.type	_Z10pnpoly_optILi32EEvPiPK15HIP_vector_typeIfLj2EES4_i,@function
_Z10pnpoly_optILi32EEvPiPK15HIP_vector_typeIfLj2EES4_i: ; @_Z10pnpoly_optILi32EEvPiPK15HIP_vector_typeIfLj2EES4_i
; %bb.0:
	s_load_b32 s33, s[0:1], 0x18
	v_lshl_or_b32 v0, ttmp9, 13, v0
	s_mov_b32 s2, exec_lo
	s_wait_kmcnt 0x0
	s_delay_alu instid0(VALU_DEP_1)
	v_cmpx_gt_i32_e64 s33, v0
	s_cbranch_execz .LBB6_226
; %bb.1:
	s_load_b64 s[2:3], s[0:1], 0x8
	v_ashrrev_i32_e32 v1, 31, v0
	v_add_nc_u32_e32 v4, 0x100, v0
	s_delay_alu instid0(VALU_DEP_2) | instskip(SKIP_1) | instid1(VALU_DEP_1)
	v_lshlrev_b64_e32 v[2:3], 3, v[0:1]
	s_wait_kmcnt 0x0
	v_add_co_u32 v66, vcc_lo, s2, v2
	s_delay_alu instid0(VALU_DEP_1)
	v_add_co_ci_u32_e64 v67, null, s3, v3, vcc_lo
	v_cmp_gt_i32_e64 s2, s33, v4
                                        ; implicit-def: $vgpr5
	global_load_b64 v[2:3], v[66:67], off
	s_and_saveexec_b32 s3, s2
	s_cbranch_execz .LBB6_3
; %bb.2:
	global_load_b64 v[4:5], v[66:67], off offset:2048
.LBB6_3:
	s_wait_alu 0xfffe
	s_or_b32 exec_lo, exec_lo, s3
	v_add_nc_u32_e32 v6, 0x200, v0
	s_delay_alu instid0(VALU_DEP_1)
	v_cmp_gt_i32_e64 s3, s33, v6
                                        ; implicit-def: $vgpr7
	s_and_saveexec_b32 s4, s3
	s_cbranch_execz .LBB6_5
; %bb.4:
	global_load_b64 v[6:7], v[66:67], off offset:4096
.LBB6_5:
	s_or_b32 exec_lo, exec_lo, s4
	v_add_nc_u32_e32 v8, 0x300, v0
	s_delay_alu instid0(VALU_DEP_1)
	v_cmp_gt_i32_e64 s4, s33, v8
                                        ; implicit-def: $vgpr9
	s_and_saveexec_b32 s5, s4
	s_cbranch_execz .LBB6_7
; %bb.6:
	global_load_b64 v[8:9], v[66:67], off offset:6144
.LBB6_7:
	s_or_b32 exec_lo, exec_lo, s5
	v_or_b32_e32 v10, 0x400, v0
	s_delay_alu instid0(VALU_DEP_1)
	v_cmp_gt_i32_e64 s5, s33, v10
                                        ; implicit-def: $vgpr11
	s_and_saveexec_b32 s6, s5
	s_cbranch_execz .LBB6_9
; %bb.8:
	global_load_b64 v[10:11], v[66:67], off offset:8192
.LBB6_9:
	s_or_b32 exec_lo, exec_lo, s6
	v_add_nc_u32_e32 v12, 0x500, v0
	s_delay_alu instid0(VALU_DEP_1)
	v_cmp_gt_i32_e64 s6, s33, v12
                                        ; implicit-def: $vgpr13
	s_and_saveexec_b32 s7, s6
	s_cbranch_execz .LBB6_11
; %bb.10:
	global_load_b64 v[12:13], v[66:67], off offset:10240
.LBB6_11:
	s_or_b32 exec_lo, exec_lo, s7
	v_add_nc_u32_e32 v14, 0x600, v0
	s_delay_alu instid0(VALU_DEP_1)
	v_cmp_gt_i32_e64 s7, s33, v14
                                        ; implicit-def: $vgpr15
	s_and_saveexec_b32 s8, s7
	s_cbranch_execz .LBB6_13
; %bb.12:
	global_load_b64 v[14:15], v[66:67], off offset:12288
.LBB6_13:
	s_or_b32 exec_lo, exec_lo, s8
	v_add_nc_u32_e32 v16, 0x700, v0
	s_delay_alu instid0(VALU_DEP_1)
	v_cmp_gt_i32_e64 s8, s33, v16
                                        ; implicit-def: $vgpr17
	s_and_saveexec_b32 s9, s8
	s_cbranch_execz .LBB6_15
; %bb.14:
	global_load_b64 v[16:17], v[66:67], off offset:14336
.LBB6_15:
	s_or_b32 exec_lo, exec_lo, s9
	v_or_b32_e32 v18, 0x800, v0
	s_delay_alu instid0(VALU_DEP_1)
	v_cmp_gt_i32_e64 s9, s33, v18
                                        ; implicit-def: $vgpr19
	s_and_saveexec_b32 s10, s9
	s_cbranch_execz .LBB6_17
; %bb.16:
	global_load_b64 v[18:19], v[66:67], off offset:16384
.LBB6_17:
	s_or_b32 exec_lo, exec_lo, s10
	v_add_nc_u32_e32 v20, 0x900, v0
	s_delay_alu instid0(VALU_DEP_1)
	v_cmp_gt_i32_e64 s10, s33, v20
                                        ; implicit-def: $vgpr21
	s_and_saveexec_b32 s11, s10
	s_cbranch_execz .LBB6_19
; %bb.18:
	global_load_b64 v[20:21], v[66:67], off offset:18432
.LBB6_19:
	s_or_b32 exec_lo, exec_lo, s11
	v_add_nc_u32_e32 v22, 0xa00, v0
	s_delay_alu instid0(VALU_DEP_1)
	v_cmp_gt_i32_e64 s11, s33, v22
                                        ; implicit-def: $vgpr23
	s_and_saveexec_b32 s12, s11
	s_cbranch_execz .LBB6_21
; %bb.20:
	global_load_b64 v[22:23], v[66:67], off offset:20480
.LBB6_21:
	s_or_b32 exec_lo, exec_lo, s12
	v_add_nc_u32_e32 v24, 0xb00, v0
	s_delay_alu instid0(VALU_DEP_1)
	v_cmp_gt_i32_e64 s12, s33, v24
                                        ; implicit-def: $vgpr25
	s_and_saveexec_b32 s13, s12
	s_cbranch_execz .LBB6_23
; %bb.22:
	global_load_b64 v[24:25], v[66:67], off offset:22528
.LBB6_23:
	s_or_b32 exec_lo, exec_lo, s13
	v_or_b32_e32 v26, 0xc00, v0
	s_delay_alu instid0(VALU_DEP_1)
	v_cmp_gt_i32_e64 s13, s33, v26
                                        ; implicit-def: $vgpr27
	s_and_saveexec_b32 s14, s13
	s_cbranch_execz .LBB6_25
; %bb.24:
	global_load_b64 v[26:27], v[66:67], off offset:24576
.LBB6_25:
	s_or_b32 exec_lo, exec_lo, s14
	v_add_nc_u32_e32 v28, 0xd00, v0
	s_delay_alu instid0(VALU_DEP_1)
	v_cmp_gt_i32_e64 s14, s33, v28
                                        ; implicit-def: $vgpr29
	s_and_saveexec_b32 s15, s14
	s_cbranch_execz .LBB6_27
; %bb.26:
	global_load_b64 v[28:29], v[66:67], off offset:26624
.LBB6_27:
	s_or_b32 exec_lo, exec_lo, s15
	v_add_nc_u32_e32 v30, 0xe00, v0
	s_delay_alu instid0(VALU_DEP_1)
	v_cmp_gt_i32_e64 s15, s33, v30
                                        ; implicit-def: $vgpr31
	s_and_saveexec_b32 s16, s15
	s_cbranch_execz .LBB6_29
; %bb.28:
	global_load_b64 v[30:31], v[66:67], off offset:28672
.LBB6_29:
	s_or_b32 exec_lo, exec_lo, s16
	v_add_nc_u32_e32 v32, 0xf00, v0
	s_delay_alu instid0(VALU_DEP_1)
	v_cmp_gt_i32_e64 s16, s33, v32
                                        ; implicit-def: $vgpr33
	s_and_saveexec_b32 s17, s16
	s_cbranch_execz .LBB6_31
; %bb.30:
	global_load_b64 v[32:33], v[66:67], off offset:30720
.LBB6_31:
	s_or_b32 exec_lo, exec_lo, s17
	v_or_b32_e32 v34, 0x1000, v0
	s_delay_alu instid0(VALU_DEP_1)
	v_cmp_gt_i32_e64 s17, s33, v34
                                        ; implicit-def: $vgpr35
	s_and_saveexec_b32 s18, s17
	s_cbranch_execz .LBB6_33
; %bb.32:
	global_load_b64 v[34:35], v[66:67], off offset:32768
.LBB6_33:
	s_or_b32 exec_lo, exec_lo, s18
	v_add_nc_u32_e32 v36, 0x1100, v0
	s_delay_alu instid0(VALU_DEP_1)
	v_cmp_gt_i32_e64 s18, s33, v36
                                        ; implicit-def: $vgpr37
	s_and_saveexec_b32 s19, s18
	s_cbranch_execz .LBB6_35
; %bb.34:
	global_load_b64 v[36:37], v[66:67], off offset:34816
.LBB6_35:
	s_or_b32 exec_lo, exec_lo, s19
	v_add_nc_u32_e32 v38, 0x1200, v0
	s_delay_alu instid0(VALU_DEP_1)
	v_cmp_gt_i32_e64 s19, s33, v38
                                        ; implicit-def: $vgpr39
	s_and_saveexec_b32 s20, s19
	s_cbranch_execz .LBB6_37
; %bb.36:
	global_load_b64 v[38:39], v[66:67], off offset:36864
.LBB6_37:
	s_or_b32 exec_lo, exec_lo, s20
	v_add_nc_u32_e32 v40, 0x1300, v0
	s_delay_alu instid0(VALU_DEP_1)
	v_cmp_gt_i32_e64 s20, s33, v40
                                        ; implicit-def: $vgpr41
	s_and_saveexec_b32 s21, s20
	s_cbranch_execz .LBB6_39
; %bb.38:
	global_load_b64 v[40:41], v[66:67], off offset:38912
.LBB6_39:
	s_or_b32 exec_lo, exec_lo, s21
	v_or_b32_e32 v42, 0x1400, v0
	s_delay_alu instid0(VALU_DEP_1)
	v_cmp_gt_i32_e64 s21, s33, v42
                                        ; implicit-def: $vgpr43
	s_and_saveexec_b32 s22, s21
	s_cbranch_execz .LBB6_41
; %bb.40:
	global_load_b64 v[42:43], v[66:67], off offset:40960
.LBB6_41:
	s_or_b32 exec_lo, exec_lo, s22
	v_add_nc_u32_e32 v44, 0x1500, v0
	s_delay_alu instid0(VALU_DEP_1)
	v_cmp_gt_i32_e64 s22, s33, v44
                                        ; implicit-def: $vgpr45
	s_and_saveexec_b32 s23, s22
	s_cbranch_execz .LBB6_43
; %bb.42:
	global_load_b64 v[44:45], v[66:67], off offset:43008
.LBB6_43:
	s_or_b32 exec_lo, exec_lo, s23
	v_add_nc_u32_e32 v46, 0x1600, v0
	s_delay_alu instid0(VALU_DEP_1)
	v_cmp_gt_i32_e64 s23, s33, v46
                                        ; implicit-def: $vgpr47
	s_and_saveexec_b32 s24, s23
	s_cbranch_execz .LBB6_45
; %bb.44:
	global_load_b64 v[46:47], v[66:67], off offset:45056
.LBB6_45:
	s_or_b32 exec_lo, exec_lo, s24
	v_add_nc_u32_e32 v48, 0x1700, v0
	s_delay_alu instid0(VALU_DEP_1)
	v_cmp_gt_i32_e64 s24, s33, v48
                                        ; implicit-def: $vgpr49
	s_and_saveexec_b32 s25, s24
	s_cbranch_execz .LBB6_47
; %bb.46:
	global_load_b64 v[48:49], v[66:67], off offset:47104
.LBB6_47:
	s_or_b32 exec_lo, exec_lo, s25
	v_or_b32_e32 v50, 0x1800, v0
	s_delay_alu instid0(VALU_DEP_1)
	v_cmp_gt_i32_e64 s25, s33, v50
                                        ; implicit-def: $vgpr51
	s_and_saveexec_b32 s26, s25
	s_cbranch_execz .LBB6_49
; %bb.48:
	global_load_b64 v[50:51], v[66:67], off offset:49152
.LBB6_49:
	s_or_b32 exec_lo, exec_lo, s26
	v_add_nc_u32_e32 v52, 0x1900, v0
	s_delay_alu instid0(VALU_DEP_1)
	v_cmp_gt_i32_e64 s26, s33, v52
                                        ; implicit-def: $vgpr53
	s_and_saveexec_b32 s27, s26
	s_cbranch_execz .LBB6_51
; %bb.50:
	global_load_b64 v[52:53], v[66:67], off offset:51200
.LBB6_51:
	s_or_b32 exec_lo, exec_lo, s27
	v_add_nc_u32_e32 v54, 0x1a00, v0
	s_delay_alu instid0(VALU_DEP_1)
	v_cmp_gt_i32_e64 s27, s33, v54
                                        ; implicit-def: $vgpr55
	s_and_saveexec_b32 s28, s27
	s_cbranch_execz .LBB6_53
; %bb.52:
	global_load_b64 v[54:55], v[66:67], off offset:53248
.LBB6_53:
	s_or_b32 exec_lo, exec_lo, s28
	v_add_nc_u32_e32 v56, 0x1b00, v0
	s_delay_alu instid0(VALU_DEP_1)
	v_cmp_gt_i32_e64 s28, s33, v56
                                        ; implicit-def: $vgpr57
	s_and_saveexec_b32 s29, s28
	s_cbranch_execz .LBB6_55
; %bb.54:
	global_load_b64 v[56:57], v[66:67], off offset:55296
.LBB6_55:
	s_or_b32 exec_lo, exec_lo, s29
	v_or_b32_e32 v58, 0x1c00, v0
	s_delay_alu instid0(VALU_DEP_1)
	v_cmp_gt_i32_e64 s29, s33, v58
                                        ; implicit-def: $vgpr59
	s_and_saveexec_b32 s30, s29
	s_cbranch_execz .LBB6_57
; %bb.56:
	global_load_b64 v[58:59], v[66:67], off offset:57344
.LBB6_57:
	s_or_b32 exec_lo, exec_lo, s30
	v_add_nc_u32_e32 v60, 0x1d00, v0
	s_delay_alu instid0(VALU_DEP_1)
	v_cmp_gt_i32_e64 s30, s33, v60
                                        ; implicit-def: $vgpr61
	s_and_saveexec_b32 s31, s30
	s_cbranch_execz .LBB6_59
; %bb.58:
	global_load_b64 v[60:61], v[66:67], off offset:59392
.LBB6_59:
	s_or_b32 exec_lo, exec_lo, s31
	s_load_b64 s[34:35], s[0:1], 0x10
	v_add_nc_u32_e32 v62, 0x1e00, v0
	s_delay_alu instid0(VALU_DEP_1)
	v_cmp_gt_i32_e64 s31, s33, v62
                                        ; implicit-def: $vgpr63
	s_and_saveexec_b32 s36, s31
	s_cbranch_execz .LBB6_61
; %bb.60:
	global_load_b64 v[62:63], v[66:67], off offset:61440
.LBB6_61:
	s_or_b32 exec_lo, exec_lo, s36
	s_load_b64 s[36:37], s[0:1], 0x0
	v_add_nc_u32_e32 v64, 0x1f00, v0
	s_delay_alu instid0(VALU_DEP_1)
	v_cmp_gt_i32_e64 s0, s33, v64
                                        ; implicit-def: $vgpr65
	s_and_saveexec_b32 s1, s0
	s_cbranch_execz .LBB6_63
; %bb.62:
	global_load_b64 v[64:65], v[66:67], off offset:63488
.LBB6_63:
	s_wait_alu 0xfffe
	s_or_b32 exec_lo, exec_lo, s1
	s_wait_kmcnt 0x0
	s_load_b64 s[40:41], s[34:35], 0x12b8
	v_mov_b32_e32 v97, 0
	s_mov_b64 s[38:39], 0
	s_delay_alu instid0(VALU_DEP_1)
	v_dual_mov_b32 v96, v97 :: v_dual_mov_b32 v95, v97
	v_dual_mov_b32 v94, v97 :: v_dual_mov_b32 v93, v97
	;; [unrolled: 1-line block ×15, first 2 shown]
	v_mov_b32_e32 v66, v97
	s_wait_kmcnt 0x0
	s_mov_b32 s42, s40
.LBB6_64:                               ; =>This Inner Loop Header: Depth=1
	s_add_nc_u64 s[44:45], s[34:35], s[38:39]
	s_mov_b32 s1, s42
	s_load_b64 s[42:43], s[44:45], 0x0
	s_wait_kmcnt 0x0
	s_sub_f32 s33, s1, s42
	s_sub_f32 s40, s41, s43
	s_wait_loadcnt 0x0
	v_cmp_ngt_f32_e64 s1, s41, v3
	s_wait_alu 0xfffe
	v_div_scale_f32 v98, null, s40, s40, s33
	v_div_scale_f32 v101, vcc_lo, s33, s40, s33
	s_delay_alu instid0(VALU_DEP_2)
	v_rcp_f32_e32 v99, v98
	v_xor_b32_e32 v98, 0x80000000, v98
	s_delay_alu instid0(TRANS32_DEP_1) | instid1(VALU_DEP_1)
	v_fma_f32 v100, v98, v99, 1.0
	s_delay_alu instid0(VALU_DEP_1) | instskip(NEXT) | instid1(VALU_DEP_1)
	v_fmac_f32_e32 v99, v100, v99
	v_mul_f32_e32 v100, v101, v99
	s_delay_alu instid0(VALU_DEP_1) | instskip(NEXT) | instid1(VALU_DEP_1)
	v_fma_f32 v102, v98, v100, v101
	v_fmac_f32_e32 v100, v102, v99
	s_delay_alu instid0(VALU_DEP_1) | instskip(SKIP_1) | instid1(VALU_DEP_1)
	v_fmac_f32_e32 v101, v98, v100
	s_wait_alu 0xfffd
	v_div_fmas_f32 v98, v101, v99, v100
	v_cmp_gt_f32_e32 vcc_lo, s43, v3
	s_delay_alu instid0(VALU_DEP_2)
	v_div_fixup_f32 v98, v98, s40, s33
	s_xor_b32 s1, vcc_lo, s1
	s_wait_alu 0xfffe
	s_xor_b32 s33, s1, -1
	s_wait_alu 0xfffe
	s_and_saveexec_b32 s1, s33
	s_cbranch_execz .LBB6_68
; %bb.65:                               ;   in Loop: Header=BB6_64 Depth=1
	v_subrev_f32_e32 v99, s43, v3
	s_mov_b32 s33, exec_lo
	s_delay_alu instid0(VALU_DEP_1) | instskip(NEXT) | instid1(VALU_DEP_1)
	v_fma_f32 v99, v98, v99, s42
	v_cmpx_lt_f32_e32 v2, v99
; %bb.66:                               ;   in Loop: Header=BB6_64 Depth=1
	v_cmp_eq_u32_e32 vcc_lo, 0, v97
	s_wait_alu 0xfffd
	v_cndmask_b32_e64 v97, 0, 1, vcc_lo
; %bb.67:                               ;   in Loop: Header=BB6_64 Depth=1
	s_wait_alu 0xfffe
	s_or_b32 exec_lo, exec_lo, s33
.LBB6_68:                               ;   in Loop: Header=BB6_64 Depth=1
	s_wait_alu 0xfffe
	s_or_b32 exec_lo, exec_lo, s1
	v_cmp_gt_f32_e32 vcc_lo, s43, v5
	v_cmp_ngt_f32_e64 s1, s41, v5
	s_xor_b32 s1, vcc_lo, s1
	s_wait_alu 0xfffe
	s_xor_b32 s33, s1, -1
	s_wait_alu 0xfffe
	s_and_saveexec_b32 s1, s33
	s_cbranch_execz .LBB6_72
; %bb.69:                               ;   in Loop: Header=BB6_64 Depth=1
	v_subrev_f32_e32 v99, s43, v5
	s_mov_b32 s33, exec_lo
	s_delay_alu instid0(VALU_DEP_1) | instskip(NEXT) | instid1(VALU_DEP_1)
	v_fma_f32 v99, v98, v99, s42
	v_cmpx_lt_f32_e32 v4, v99
; %bb.70:                               ;   in Loop: Header=BB6_64 Depth=1
	v_cmp_eq_u32_e32 vcc_lo, 0, v96
	s_wait_alu 0xfffd
	v_cndmask_b32_e64 v96, 0, 1, vcc_lo
; %bb.71:                               ;   in Loop: Header=BB6_64 Depth=1
	s_wait_alu 0xfffe
	s_or_b32 exec_lo, exec_lo, s33
.LBB6_72:                               ;   in Loop: Header=BB6_64 Depth=1
	s_wait_alu 0xfffe
	s_or_b32 exec_lo, exec_lo, s1
	v_cmp_gt_f32_e32 vcc_lo, s43, v7
	v_cmp_ngt_f32_e64 s1, s41, v7
	s_xor_b32 s1, vcc_lo, s1
	s_wait_alu 0xfffe
	s_xor_b32 s33, s1, -1
	s_wait_alu 0xfffe
	s_and_saveexec_b32 s1, s33
	s_cbranch_execz .LBB6_76
; %bb.73:                               ;   in Loop: Header=BB6_64 Depth=1
	v_subrev_f32_e32 v99, s43, v7
	s_mov_b32 s33, exec_lo
	s_delay_alu instid0(VALU_DEP_1) | instskip(NEXT) | instid1(VALU_DEP_1)
	v_fma_f32 v99, v98, v99, s42
	v_cmpx_lt_f32_e32 v6, v99
; %bb.74:                               ;   in Loop: Header=BB6_64 Depth=1
	v_cmp_eq_u32_e32 vcc_lo, 0, v95
	s_wait_alu 0xfffd
	v_cndmask_b32_e64 v95, 0, 1, vcc_lo
; %bb.75:                               ;   in Loop: Header=BB6_64 Depth=1
	s_wait_alu 0xfffe
	s_or_b32 exec_lo, exec_lo, s33
.LBB6_76:                               ;   in Loop: Header=BB6_64 Depth=1
	s_wait_alu 0xfffe
	s_or_b32 exec_lo, exec_lo, s1
	v_cmp_gt_f32_e32 vcc_lo, s43, v9
	v_cmp_ngt_f32_e64 s1, s41, v9
	s_xor_b32 s1, vcc_lo, s1
	s_wait_alu 0xfffe
	s_xor_b32 s33, s1, -1
	s_wait_alu 0xfffe
	s_and_saveexec_b32 s1, s33
	s_cbranch_execz .LBB6_80
; %bb.77:                               ;   in Loop: Header=BB6_64 Depth=1
	v_subrev_f32_e32 v99, s43, v9
	s_mov_b32 s33, exec_lo
	s_delay_alu instid0(VALU_DEP_1) | instskip(NEXT) | instid1(VALU_DEP_1)
	v_fma_f32 v99, v98, v99, s42
	v_cmpx_lt_f32_e32 v8, v99
; %bb.78:                               ;   in Loop: Header=BB6_64 Depth=1
	v_cmp_eq_u32_e32 vcc_lo, 0, v94
	s_wait_alu 0xfffd
	v_cndmask_b32_e64 v94, 0, 1, vcc_lo
; %bb.79:                               ;   in Loop: Header=BB6_64 Depth=1
	s_wait_alu 0xfffe
	s_or_b32 exec_lo, exec_lo, s33
.LBB6_80:                               ;   in Loop: Header=BB6_64 Depth=1
	s_wait_alu 0xfffe
	s_or_b32 exec_lo, exec_lo, s1
	v_cmp_gt_f32_e32 vcc_lo, s43, v11
	v_cmp_ngt_f32_e64 s1, s41, v11
	s_xor_b32 s1, vcc_lo, s1
	s_wait_alu 0xfffe
	s_xor_b32 s33, s1, -1
	s_wait_alu 0xfffe
	s_and_saveexec_b32 s1, s33
	s_cbranch_execz .LBB6_84
; %bb.81:                               ;   in Loop: Header=BB6_64 Depth=1
	v_subrev_f32_e32 v99, s43, v11
	s_mov_b32 s33, exec_lo
	s_delay_alu instid0(VALU_DEP_1) | instskip(NEXT) | instid1(VALU_DEP_1)
	v_fma_f32 v99, v98, v99, s42
	v_cmpx_lt_f32_e32 v10, v99
; %bb.82:                               ;   in Loop: Header=BB6_64 Depth=1
	v_cmp_eq_u32_e32 vcc_lo, 0, v93
	s_wait_alu 0xfffd
	v_cndmask_b32_e64 v93, 0, 1, vcc_lo
; %bb.83:                               ;   in Loop: Header=BB6_64 Depth=1
	s_wait_alu 0xfffe
	s_or_b32 exec_lo, exec_lo, s33
.LBB6_84:                               ;   in Loop: Header=BB6_64 Depth=1
	s_wait_alu 0xfffe
	s_or_b32 exec_lo, exec_lo, s1
	v_cmp_gt_f32_e32 vcc_lo, s43, v13
	v_cmp_ngt_f32_e64 s1, s41, v13
	s_xor_b32 s1, vcc_lo, s1
	s_wait_alu 0xfffe
	s_xor_b32 s33, s1, -1
	s_wait_alu 0xfffe
	s_and_saveexec_b32 s1, s33
	s_cbranch_execz .LBB6_88
; %bb.85:                               ;   in Loop: Header=BB6_64 Depth=1
	v_subrev_f32_e32 v99, s43, v13
	s_mov_b32 s33, exec_lo
	s_delay_alu instid0(VALU_DEP_1) | instskip(NEXT) | instid1(VALU_DEP_1)
	v_fma_f32 v99, v98, v99, s42
	v_cmpx_lt_f32_e32 v12, v99
; %bb.86:                               ;   in Loop: Header=BB6_64 Depth=1
	v_cmp_eq_u32_e32 vcc_lo, 0, v92
	s_wait_alu 0xfffd
	v_cndmask_b32_e64 v92, 0, 1, vcc_lo
; %bb.87:                               ;   in Loop: Header=BB6_64 Depth=1
	s_wait_alu 0xfffe
	s_or_b32 exec_lo, exec_lo, s33
.LBB6_88:                               ;   in Loop: Header=BB6_64 Depth=1
	s_wait_alu 0xfffe
	s_or_b32 exec_lo, exec_lo, s1
	v_cmp_gt_f32_e32 vcc_lo, s43, v15
	v_cmp_ngt_f32_e64 s1, s41, v15
	s_xor_b32 s1, vcc_lo, s1
	s_wait_alu 0xfffe
	s_xor_b32 s33, s1, -1
	s_wait_alu 0xfffe
	s_and_saveexec_b32 s1, s33
	s_cbranch_execz .LBB6_92
; %bb.89:                               ;   in Loop: Header=BB6_64 Depth=1
	v_subrev_f32_e32 v99, s43, v15
	s_mov_b32 s33, exec_lo
	s_delay_alu instid0(VALU_DEP_1) | instskip(NEXT) | instid1(VALU_DEP_1)
	v_fma_f32 v99, v98, v99, s42
	v_cmpx_lt_f32_e32 v14, v99
; %bb.90:                               ;   in Loop: Header=BB6_64 Depth=1
	v_cmp_eq_u32_e32 vcc_lo, 0, v91
	s_wait_alu 0xfffd
	v_cndmask_b32_e64 v91, 0, 1, vcc_lo
; %bb.91:                               ;   in Loop: Header=BB6_64 Depth=1
	s_wait_alu 0xfffe
	s_or_b32 exec_lo, exec_lo, s33
.LBB6_92:                               ;   in Loop: Header=BB6_64 Depth=1
	s_wait_alu 0xfffe
	s_or_b32 exec_lo, exec_lo, s1
	v_cmp_gt_f32_e32 vcc_lo, s43, v17
	v_cmp_ngt_f32_e64 s1, s41, v17
	s_xor_b32 s1, vcc_lo, s1
	s_wait_alu 0xfffe
	s_xor_b32 s33, s1, -1
	s_wait_alu 0xfffe
	s_and_saveexec_b32 s1, s33
	s_cbranch_execz .LBB6_96
; %bb.93:                               ;   in Loop: Header=BB6_64 Depth=1
	v_subrev_f32_e32 v99, s43, v17
	s_mov_b32 s33, exec_lo
	s_delay_alu instid0(VALU_DEP_1) | instskip(NEXT) | instid1(VALU_DEP_1)
	v_fma_f32 v99, v98, v99, s42
	v_cmpx_lt_f32_e32 v16, v99
; %bb.94:                               ;   in Loop: Header=BB6_64 Depth=1
	v_cmp_eq_u32_e32 vcc_lo, 0, v90
	s_wait_alu 0xfffd
	v_cndmask_b32_e64 v90, 0, 1, vcc_lo
; %bb.95:                               ;   in Loop: Header=BB6_64 Depth=1
	s_wait_alu 0xfffe
	s_or_b32 exec_lo, exec_lo, s33
.LBB6_96:                               ;   in Loop: Header=BB6_64 Depth=1
	s_wait_alu 0xfffe
	s_or_b32 exec_lo, exec_lo, s1
	v_cmp_gt_f32_e32 vcc_lo, s43, v19
	v_cmp_ngt_f32_e64 s1, s41, v19
	s_xor_b32 s1, vcc_lo, s1
	s_wait_alu 0xfffe
	s_xor_b32 s33, s1, -1
	s_wait_alu 0xfffe
	s_and_saveexec_b32 s1, s33
	s_cbranch_execz .LBB6_100
; %bb.97:                               ;   in Loop: Header=BB6_64 Depth=1
	v_subrev_f32_e32 v99, s43, v19
	s_mov_b32 s33, exec_lo
	s_delay_alu instid0(VALU_DEP_1) | instskip(NEXT) | instid1(VALU_DEP_1)
	v_fma_f32 v99, v98, v99, s42
	v_cmpx_lt_f32_e32 v18, v99
; %bb.98:                               ;   in Loop: Header=BB6_64 Depth=1
	v_cmp_eq_u32_e32 vcc_lo, 0, v89
	s_wait_alu 0xfffd
	v_cndmask_b32_e64 v89, 0, 1, vcc_lo
; %bb.99:                               ;   in Loop: Header=BB6_64 Depth=1
	s_wait_alu 0xfffe
	s_or_b32 exec_lo, exec_lo, s33
.LBB6_100:                              ;   in Loop: Header=BB6_64 Depth=1
	s_wait_alu 0xfffe
	s_or_b32 exec_lo, exec_lo, s1
	v_cmp_gt_f32_e32 vcc_lo, s43, v21
	v_cmp_ngt_f32_e64 s1, s41, v21
	s_xor_b32 s1, vcc_lo, s1
	s_wait_alu 0xfffe
	s_xor_b32 s33, s1, -1
	s_wait_alu 0xfffe
	s_and_saveexec_b32 s1, s33
	s_cbranch_execz .LBB6_104
; %bb.101:                              ;   in Loop: Header=BB6_64 Depth=1
	v_subrev_f32_e32 v99, s43, v21
	s_mov_b32 s33, exec_lo
	s_delay_alu instid0(VALU_DEP_1) | instskip(NEXT) | instid1(VALU_DEP_1)
	v_fma_f32 v99, v98, v99, s42
	v_cmpx_lt_f32_e32 v20, v99
; %bb.102:                              ;   in Loop: Header=BB6_64 Depth=1
	v_cmp_eq_u32_e32 vcc_lo, 0, v88
	s_wait_alu 0xfffd
	v_cndmask_b32_e64 v88, 0, 1, vcc_lo
; %bb.103:                              ;   in Loop: Header=BB6_64 Depth=1
	s_wait_alu 0xfffe
	s_or_b32 exec_lo, exec_lo, s33
.LBB6_104:                              ;   in Loop: Header=BB6_64 Depth=1
	s_wait_alu 0xfffe
	s_or_b32 exec_lo, exec_lo, s1
	v_cmp_gt_f32_e32 vcc_lo, s43, v23
	v_cmp_ngt_f32_e64 s1, s41, v23
	s_xor_b32 s1, vcc_lo, s1
	s_wait_alu 0xfffe
	s_xor_b32 s33, s1, -1
	s_wait_alu 0xfffe
	s_and_saveexec_b32 s1, s33
	s_cbranch_execz .LBB6_108
; %bb.105:                              ;   in Loop: Header=BB6_64 Depth=1
	v_subrev_f32_e32 v99, s43, v23
	s_mov_b32 s33, exec_lo
	s_delay_alu instid0(VALU_DEP_1) | instskip(NEXT) | instid1(VALU_DEP_1)
	v_fma_f32 v99, v98, v99, s42
	v_cmpx_lt_f32_e32 v22, v99
; %bb.106:                              ;   in Loop: Header=BB6_64 Depth=1
	v_cmp_eq_u32_e32 vcc_lo, 0, v87
	s_wait_alu 0xfffd
	v_cndmask_b32_e64 v87, 0, 1, vcc_lo
; %bb.107:                              ;   in Loop: Header=BB6_64 Depth=1
	s_wait_alu 0xfffe
	s_or_b32 exec_lo, exec_lo, s33
.LBB6_108:                              ;   in Loop: Header=BB6_64 Depth=1
	;; [unrolled: 24-line block ×23, first 2 shown]
	s_wait_alu 0xfffe
	s_or_b32 exec_lo, exec_lo, s1
	s_add_nc_u64 s[38:39], s[38:39], 8
	s_delay_alu instid0(SALU_CYCLE_1)
	s_cmp_lg_u32 s38, 0x12c0
	s_cbranch_scc0 .LBB6_194
; %bb.193:                              ;   in Loop: Header=BB6_64 Depth=1
	s_mov_b32 s41, s43
	s_branch .LBB6_64
.LBB6_194:
	v_lshlrev_b64_e32 v[0:1], 2, v[0:1]
	s_delay_alu instid0(VALU_DEP_1) | instskip(SKIP_1) | instid1(VALU_DEP_2)
	v_add_co_u32 v0, vcc_lo, s36, v0
	s_wait_alu 0xfffd
	v_add_co_ci_u32_e64 v1, null, s37, v1, vcc_lo
	global_store_b32 v[0:1], v97, off
	s_and_saveexec_b32 s1, s2
	s_cbranch_execnz .LBB6_227
; %bb.195:
	s_wait_alu 0xfffe
	s_or_b32 exec_lo, exec_lo, s1
	s_and_saveexec_b32 s1, s3
	s_cbranch_execnz .LBB6_228
.LBB6_196:
	s_wait_alu 0xfffe
	s_or_b32 exec_lo, exec_lo, s1
	s_and_saveexec_b32 s1, s4
	s_cbranch_execnz .LBB6_229
.LBB6_197:
	s_wait_alu 0xfffe
	s_or_b32 exec_lo, exec_lo, s1
	s_and_saveexec_b32 s1, s5
	s_cbranch_execnz .LBB6_230
.LBB6_198:
	s_wait_alu 0xfffe
	s_or_b32 exec_lo, exec_lo, s1
	s_and_saveexec_b32 s1, s6
	s_cbranch_execnz .LBB6_231
.LBB6_199:
	s_wait_alu 0xfffe
	s_or_b32 exec_lo, exec_lo, s1
	s_and_saveexec_b32 s1, s7
	s_cbranch_execnz .LBB6_232
.LBB6_200:
	s_wait_alu 0xfffe
	s_or_b32 exec_lo, exec_lo, s1
	s_and_saveexec_b32 s1, s8
	s_cbranch_execnz .LBB6_233
.LBB6_201:
	s_wait_alu 0xfffe
	s_or_b32 exec_lo, exec_lo, s1
	s_and_saveexec_b32 s1, s9
	s_cbranch_execnz .LBB6_234
.LBB6_202:
	s_wait_alu 0xfffe
	s_or_b32 exec_lo, exec_lo, s1
	s_and_saveexec_b32 s1, s10
	s_cbranch_execnz .LBB6_235
.LBB6_203:
	s_wait_alu 0xfffe
	s_or_b32 exec_lo, exec_lo, s1
	s_and_saveexec_b32 s1, s11
	s_cbranch_execnz .LBB6_236
.LBB6_204:
	s_wait_alu 0xfffe
	s_or_b32 exec_lo, exec_lo, s1
	s_and_saveexec_b32 s1, s12
	s_cbranch_execnz .LBB6_237
.LBB6_205:
	s_wait_alu 0xfffe
	s_or_b32 exec_lo, exec_lo, s1
	s_and_saveexec_b32 s1, s13
	s_cbranch_execnz .LBB6_238
.LBB6_206:
	s_wait_alu 0xfffe
	s_or_b32 exec_lo, exec_lo, s1
	s_and_saveexec_b32 s1, s14
	s_cbranch_execnz .LBB6_239
.LBB6_207:
	s_wait_alu 0xfffe
	s_or_b32 exec_lo, exec_lo, s1
	s_and_saveexec_b32 s1, s15
	s_cbranch_execnz .LBB6_240
.LBB6_208:
	s_wait_alu 0xfffe
	s_or_b32 exec_lo, exec_lo, s1
	s_and_saveexec_b32 s1, s16
	s_cbranch_execnz .LBB6_241
.LBB6_209:
	s_wait_alu 0xfffe
	s_or_b32 exec_lo, exec_lo, s1
	s_and_saveexec_b32 s1, s17
	s_cbranch_execnz .LBB6_242
.LBB6_210:
	s_wait_alu 0xfffe
	s_or_b32 exec_lo, exec_lo, s1
	s_and_saveexec_b32 s1, s18
	s_cbranch_execnz .LBB6_243
.LBB6_211:
	s_wait_alu 0xfffe
	s_or_b32 exec_lo, exec_lo, s1
	s_and_saveexec_b32 s1, s19
	s_cbranch_execnz .LBB6_244
.LBB6_212:
	s_wait_alu 0xfffe
	s_or_b32 exec_lo, exec_lo, s1
	s_and_saveexec_b32 s1, s20
	s_cbranch_execnz .LBB6_245
.LBB6_213:
	s_wait_alu 0xfffe
	s_or_b32 exec_lo, exec_lo, s1
	s_and_saveexec_b32 s1, s21
	s_cbranch_execnz .LBB6_246
.LBB6_214:
	s_wait_alu 0xfffe
	s_or_b32 exec_lo, exec_lo, s1
	s_and_saveexec_b32 s1, s22
	s_cbranch_execnz .LBB6_247
.LBB6_215:
	s_wait_alu 0xfffe
	s_or_b32 exec_lo, exec_lo, s1
	s_and_saveexec_b32 s1, s23
	s_cbranch_execnz .LBB6_248
.LBB6_216:
	s_wait_alu 0xfffe
	s_or_b32 exec_lo, exec_lo, s1
	s_and_saveexec_b32 s1, s24
	s_cbranch_execnz .LBB6_249
.LBB6_217:
	s_wait_alu 0xfffe
	s_or_b32 exec_lo, exec_lo, s1
	s_and_saveexec_b32 s1, s25
	s_cbranch_execnz .LBB6_250
.LBB6_218:
	s_wait_alu 0xfffe
	s_or_b32 exec_lo, exec_lo, s1
	s_and_saveexec_b32 s1, s26
	s_cbranch_execnz .LBB6_251
.LBB6_219:
	s_wait_alu 0xfffe
	s_or_b32 exec_lo, exec_lo, s1
	s_and_saveexec_b32 s1, s27
	s_cbranch_execnz .LBB6_252
.LBB6_220:
	s_wait_alu 0xfffe
	s_or_b32 exec_lo, exec_lo, s1
	s_and_saveexec_b32 s1, s28
	s_cbranch_execnz .LBB6_253
.LBB6_221:
	s_wait_alu 0xfffe
	s_or_b32 exec_lo, exec_lo, s1
	s_and_saveexec_b32 s1, s29
	s_cbranch_execnz .LBB6_254
.LBB6_222:
	s_wait_alu 0xfffe
	s_or_b32 exec_lo, exec_lo, s1
	s_and_saveexec_b32 s1, s30
	s_cbranch_execnz .LBB6_255
.LBB6_223:
	s_wait_alu 0xfffe
	s_or_b32 exec_lo, exec_lo, s1
	s_and_saveexec_b32 s1, s31
	s_cbranch_execnz .LBB6_256
.LBB6_224:
	s_wait_alu 0xfffe
	s_or_b32 exec_lo, exec_lo, s1
	s_delay_alu instid0(SALU_CYCLE_1)
	s_and_b32 exec_lo, exec_lo, s0
	s_cbranch_execz .LBB6_226
.LBB6_225:
	global_store_b32 v[0:1], v66, off offset:31744
.LBB6_226:
	s_nop 0
	s_sendmsg sendmsg(MSG_DEALLOC_VGPRS)
	s_endpgm
.LBB6_227:
	global_store_b32 v[0:1], v96, off offset:1024
	s_wait_alu 0xfffe
	s_or_b32 exec_lo, exec_lo, s1
	s_and_saveexec_b32 s1, s3
	s_cbranch_execz .LBB6_196
.LBB6_228:
	global_store_b32 v[0:1], v95, off offset:2048
	s_wait_alu 0xfffe
	s_or_b32 exec_lo, exec_lo, s1
	s_and_saveexec_b32 s1, s4
	s_cbranch_execz .LBB6_197
.LBB6_229:
	global_store_b32 v[0:1], v94, off offset:3072
	s_wait_alu 0xfffe
	s_or_b32 exec_lo, exec_lo, s1
	s_and_saveexec_b32 s1, s5
	s_cbranch_execz .LBB6_198
.LBB6_230:
	global_store_b32 v[0:1], v93, off offset:4096
	s_wait_alu 0xfffe
	s_or_b32 exec_lo, exec_lo, s1
	s_and_saveexec_b32 s1, s6
	s_cbranch_execz .LBB6_199
.LBB6_231:
	global_store_b32 v[0:1], v92, off offset:5120
	s_wait_alu 0xfffe
	s_or_b32 exec_lo, exec_lo, s1
	s_and_saveexec_b32 s1, s7
	s_cbranch_execz .LBB6_200
.LBB6_232:
	global_store_b32 v[0:1], v91, off offset:6144
	s_wait_alu 0xfffe
	s_or_b32 exec_lo, exec_lo, s1
	s_and_saveexec_b32 s1, s8
	s_cbranch_execz .LBB6_201
.LBB6_233:
	global_store_b32 v[0:1], v90, off offset:7168
	s_wait_alu 0xfffe
	s_or_b32 exec_lo, exec_lo, s1
	s_and_saveexec_b32 s1, s9
	s_cbranch_execz .LBB6_202
.LBB6_234:
	global_store_b32 v[0:1], v89, off offset:8192
	s_wait_alu 0xfffe
	s_or_b32 exec_lo, exec_lo, s1
	s_and_saveexec_b32 s1, s10
	s_cbranch_execz .LBB6_203
.LBB6_235:
	global_store_b32 v[0:1], v88, off offset:9216
	s_wait_alu 0xfffe
	s_or_b32 exec_lo, exec_lo, s1
	s_and_saveexec_b32 s1, s11
	s_cbranch_execz .LBB6_204
.LBB6_236:
	global_store_b32 v[0:1], v87, off offset:10240
	s_wait_alu 0xfffe
	s_or_b32 exec_lo, exec_lo, s1
	s_and_saveexec_b32 s1, s12
	s_cbranch_execz .LBB6_205
.LBB6_237:
	global_store_b32 v[0:1], v86, off offset:11264
	s_wait_alu 0xfffe
	s_or_b32 exec_lo, exec_lo, s1
	s_and_saveexec_b32 s1, s13
	s_cbranch_execz .LBB6_206
.LBB6_238:
	global_store_b32 v[0:1], v85, off offset:12288
	s_wait_alu 0xfffe
	s_or_b32 exec_lo, exec_lo, s1
	s_and_saveexec_b32 s1, s14
	s_cbranch_execz .LBB6_207
.LBB6_239:
	global_store_b32 v[0:1], v84, off offset:13312
	s_wait_alu 0xfffe
	s_or_b32 exec_lo, exec_lo, s1
	s_and_saveexec_b32 s1, s15
	s_cbranch_execz .LBB6_208
.LBB6_240:
	global_store_b32 v[0:1], v83, off offset:14336
	s_wait_alu 0xfffe
	s_or_b32 exec_lo, exec_lo, s1
	s_and_saveexec_b32 s1, s16
	s_cbranch_execz .LBB6_209
.LBB6_241:
	global_store_b32 v[0:1], v82, off offset:15360
	s_wait_alu 0xfffe
	s_or_b32 exec_lo, exec_lo, s1
	s_and_saveexec_b32 s1, s17
	s_cbranch_execz .LBB6_210
.LBB6_242:
	global_store_b32 v[0:1], v81, off offset:16384
	s_wait_alu 0xfffe
	s_or_b32 exec_lo, exec_lo, s1
	s_and_saveexec_b32 s1, s18
	s_cbranch_execz .LBB6_211
.LBB6_243:
	global_store_b32 v[0:1], v80, off offset:17408
	s_wait_alu 0xfffe
	s_or_b32 exec_lo, exec_lo, s1
	s_and_saveexec_b32 s1, s19
	s_cbranch_execz .LBB6_212
.LBB6_244:
	global_store_b32 v[0:1], v79, off offset:18432
	s_wait_alu 0xfffe
	s_or_b32 exec_lo, exec_lo, s1
	s_and_saveexec_b32 s1, s20
	s_cbranch_execz .LBB6_213
.LBB6_245:
	global_store_b32 v[0:1], v78, off offset:19456
	s_wait_alu 0xfffe
	s_or_b32 exec_lo, exec_lo, s1
	s_and_saveexec_b32 s1, s21
	s_cbranch_execz .LBB6_214
.LBB6_246:
	global_store_b32 v[0:1], v77, off offset:20480
	s_wait_alu 0xfffe
	s_or_b32 exec_lo, exec_lo, s1
	s_and_saveexec_b32 s1, s22
	s_cbranch_execz .LBB6_215
.LBB6_247:
	global_store_b32 v[0:1], v76, off offset:21504
	s_wait_alu 0xfffe
	s_or_b32 exec_lo, exec_lo, s1
	s_and_saveexec_b32 s1, s23
	s_cbranch_execz .LBB6_216
.LBB6_248:
	global_store_b32 v[0:1], v75, off offset:22528
	s_wait_alu 0xfffe
	s_or_b32 exec_lo, exec_lo, s1
	s_and_saveexec_b32 s1, s24
	s_cbranch_execz .LBB6_217
.LBB6_249:
	global_store_b32 v[0:1], v74, off offset:23552
	s_wait_alu 0xfffe
	s_or_b32 exec_lo, exec_lo, s1
	s_and_saveexec_b32 s1, s25
	s_cbranch_execz .LBB6_218
.LBB6_250:
	global_store_b32 v[0:1], v73, off offset:24576
	s_wait_alu 0xfffe
	s_or_b32 exec_lo, exec_lo, s1
	s_and_saveexec_b32 s1, s26
	s_cbranch_execz .LBB6_219
.LBB6_251:
	global_store_b32 v[0:1], v72, off offset:25600
	s_wait_alu 0xfffe
	s_or_b32 exec_lo, exec_lo, s1
	s_and_saveexec_b32 s1, s27
	s_cbranch_execz .LBB6_220
.LBB6_252:
	global_store_b32 v[0:1], v71, off offset:26624
	s_wait_alu 0xfffe
	s_or_b32 exec_lo, exec_lo, s1
	s_and_saveexec_b32 s1, s28
	s_cbranch_execz .LBB6_221
.LBB6_253:
	global_store_b32 v[0:1], v70, off offset:27648
	s_wait_alu 0xfffe
	s_or_b32 exec_lo, exec_lo, s1
	s_and_saveexec_b32 s1, s29
	s_cbranch_execz .LBB6_222
.LBB6_254:
	global_store_b32 v[0:1], v69, off offset:28672
	s_wait_alu 0xfffe
	s_or_b32 exec_lo, exec_lo, s1
	s_and_saveexec_b32 s1, s30
	s_cbranch_execz .LBB6_223
.LBB6_255:
	global_store_b32 v[0:1], v68, off offset:29696
	s_wait_alu 0xfffe
	s_or_b32 exec_lo, exec_lo, s1
	s_and_saveexec_b32 s1, s31
	s_cbranch_execz .LBB6_224
.LBB6_256:
	global_store_b32 v[0:1], v67, off offset:30720
	s_wait_alu 0xfffe
	s_or_b32 exec_lo, exec_lo, s1
	s_delay_alu instid0(SALU_CYCLE_1)
	s_and_b32 exec_lo, exec_lo, s0
	s_cbranch_execnz .LBB6_225
	s_branch .LBB6_226
	.section	.rodata,"a",@progbits
	.p2align	6, 0x0
	.amdhsa_kernel _Z10pnpoly_optILi32EEvPiPK15HIP_vector_typeIfLj2EES4_i
		.amdhsa_group_segment_fixed_size 0
		.amdhsa_private_segment_fixed_size 0
		.amdhsa_kernarg_size 28
		.amdhsa_user_sgpr_count 2
		.amdhsa_user_sgpr_dispatch_ptr 0
		.amdhsa_user_sgpr_queue_ptr 0
		.amdhsa_user_sgpr_kernarg_segment_ptr 1
		.amdhsa_user_sgpr_dispatch_id 0
		.amdhsa_user_sgpr_private_segment_size 0
		.amdhsa_wavefront_size32 1
		.amdhsa_uses_dynamic_stack 0
		.amdhsa_enable_private_segment 0
		.amdhsa_system_sgpr_workgroup_id_x 1
		.amdhsa_system_sgpr_workgroup_id_y 0
		.amdhsa_system_sgpr_workgroup_id_z 0
		.amdhsa_system_sgpr_workgroup_info 0
		.amdhsa_system_vgpr_workitem_id 0
		.amdhsa_next_free_vgpr 103
		.amdhsa_next_free_sgpr 46
		.amdhsa_reserve_vcc 1
		.amdhsa_float_round_mode_32 0
		.amdhsa_float_round_mode_16_64 0
		.amdhsa_float_denorm_mode_32 3
		.amdhsa_float_denorm_mode_16_64 3
		.amdhsa_fp16_overflow 0
		.amdhsa_workgroup_processor_mode 1
		.amdhsa_memory_ordered 1
		.amdhsa_forward_progress 1
		.amdhsa_inst_pref_size 49
		.amdhsa_round_robin_scheduling 0
		.amdhsa_exception_fp_ieee_invalid_op 0
		.amdhsa_exception_fp_denorm_src 0
		.amdhsa_exception_fp_ieee_div_zero 0
		.amdhsa_exception_fp_ieee_overflow 0
		.amdhsa_exception_fp_ieee_underflow 0
		.amdhsa_exception_fp_ieee_inexact 0
		.amdhsa_exception_int_div_zero 0
	.end_amdhsa_kernel
	.section	.text._Z10pnpoly_optILi32EEvPiPK15HIP_vector_typeIfLj2EES4_i,"axG",@progbits,_Z10pnpoly_optILi32EEvPiPK15HIP_vector_typeIfLj2EES4_i,comdat
.Lfunc_end6:
	.size	_Z10pnpoly_optILi32EEvPiPK15HIP_vector_typeIfLj2EES4_i, .Lfunc_end6-_Z10pnpoly_optILi32EEvPiPK15HIP_vector_typeIfLj2EES4_i
                                        ; -- End function
	.set _Z10pnpoly_optILi32EEvPiPK15HIP_vector_typeIfLj2EES4_i.num_vgpr, 103
	.set _Z10pnpoly_optILi32EEvPiPK15HIP_vector_typeIfLj2EES4_i.num_agpr, 0
	.set _Z10pnpoly_optILi32EEvPiPK15HIP_vector_typeIfLj2EES4_i.numbered_sgpr, 46
	.set _Z10pnpoly_optILi32EEvPiPK15HIP_vector_typeIfLj2EES4_i.num_named_barrier, 0
	.set _Z10pnpoly_optILi32EEvPiPK15HIP_vector_typeIfLj2EES4_i.private_seg_size, 0
	.set _Z10pnpoly_optILi32EEvPiPK15HIP_vector_typeIfLj2EES4_i.uses_vcc, 1
	.set _Z10pnpoly_optILi32EEvPiPK15HIP_vector_typeIfLj2EES4_i.uses_flat_scratch, 0
	.set _Z10pnpoly_optILi32EEvPiPK15HIP_vector_typeIfLj2EES4_i.has_dyn_sized_stack, 0
	.set _Z10pnpoly_optILi32EEvPiPK15HIP_vector_typeIfLj2EES4_i.has_recursion, 0
	.set _Z10pnpoly_optILi32EEvPiPK15HIP_vector_typeIfLj2EES4_i.has_indirect_call, 0
	.section	.AMDGPU.csdata,"",@progbits
; Kernel info:
; codeLenInByte = 6152
; TotalNumSgprs: 48
; NumVgprs: 103
; ScratchSize: 0
; MemoryBound: 0
; FloatMode: 240
; IeeeMode: 1
; LDSByteSize: 0 bytes/workgroup (compile time only)
; SGPRBlocks: 0
; VGPRBlocks: 12
; NumSGPRsForWavesPerEU: 48
; NumVGPRsForWavesPerEU: 103
; Occupancy: 12
; WaveLimiterHint : 0
; COMPUTE_PGM_RSRC2:SCRATCH_EN: 0
; COMPUTE_PGM_RSRC2:USER_SGPR: 2
; COMPUTE_PGM_RSRC2:TRAP_HANDLER: 0
; COMPUTE_PGM_RSRC2:TGID_X_EN: 1
; COMPUTE_PGM_RSRC2:TGID_Y_EN: 0
; COMPUTE_PGM_RSRC2:TGID_Z_EN: 0
; COMPUTE_PGM_RSRC2:TIDIG_COMP_CNT: 0
	.section	.text._Z10pnpoly_optILi64EEvPiPK15HIP_vector_typeIfLj2EES4_i,"axG",@progbits,_Z10pnpoly_optILi64EEvPiPK15HIP_vector_typeIfLj2EES4_i,comdat
	.protected	_Z10pnpoly_optILi64EEvPiPK15HIP_vector_typeIfLj2EES4_i ; -- Begin function _Z10pnpoly_optILi64EEvPiPK15HIP_vector_typeIfLj2EES4_i
	.globl	_Z10pnpoly_optILi64EEvPiPK15HIP_vector_typeIfLj2EES4_i
	.p2align	8
	.type	_Z10pnpoly_optILi64EEvPiPK15HIP_vector_typeIfLj2EES4_i,@function
_Z10pnpoly_optILi64EEvPiPK15HIP_vector_typeIfLj2EES4_i: ; @_Z10pnpoly_optILi64EEvPiPK15HIP_vector_typeIfLj2EES4_i
; %bb.0:
	s_load_b32 s65, s[0:1], 0x18
	v_lshl_or_b32 v0, ttmp9, 14, v0
	s_mov_b32 s2, exec_lo
	s_wait_kmcnt 0x0
	s_delay_alu instid0(VALU_DEP_1)
	v_cmpx_gt_i32_e64 s65, v0
	s_cbranch_execz .LBB7_450
; %bb.1:
	s_load_b64 s[2:3], s[0:1], 0x8
	v_ashrrev_i32_e32 v1, 31, v0
	v_add_nc_u32_e32 v4, 0x100, v0
	s_delay_alu instid0(VALU_DEP_2) | instskip(SKIP_1) | instid1(VALU_DEP_1)
	v_lshlrev_b64_e32 v[2:3], 3, v[0:1]
	s_wait_kmcnt 0x0
	v_add_co_u32 v130, vcc_lo, s2, v2
	s_delay_alu instid0(VALU_DEP_1)
	v_add_co_ci_u32_e64 v131, null, s3, v3, vcc_lo
	v_cmp_gt_i32_e64 s2, s65, v4
                                        ; implicit-def: $vgpr5
	global_load_b64 v[2:3], v[130:131], off
	s_and_saveexec_b32 s3, s2
	s_cbranch_execz .LBB7_3
; %bb.2:
	global_load_b64 v[4:5], v[130:131], off offset:2048
.LBB7_3:
	s_wait_alu 0xfffe
	s_or_b32 exec_lo, exec_lo, s3
	v_add_nc_u32_e32 v6, 0x200, v0
	s_delay_alu instid0(VALU_DEP_1)
	v_cmp_gt_i32_e64 s3, s65, v6
                                        ; implicit-def: $vgpr7
	s_and_saveexec_b32 s4, s3
	s_cbranch_execz .LBB7_5
; %bb.4:
	global_load_b64 v[6:7], v[130:131], off offset:4096
.LBB7_5:
	s_or_b32 exec_lo, exec_lo, s4
	v_add_nc_u32_e32 v8, 0x300, v0
	s_delay_alu instid0(VALU_DEP_1)
	v_cmp_gt_i32_e64 s4, s65, v8
                                        ; implicit-def: $vgpr9
	s_and_saveexec_b32 s5, s4
	s_cbranch_execz .LBB7_7
; %bb.6:
	global_load_b64 v[8:9], v[130:131], off offset:6144
.LBB7_7:
	s_or_b32 exec_lo, exec_lo, s5
	v_or_b32_e32 v10, 0x400, v0
	s_delay_alu instid0(VALU_DEP_1)
	v_cmp_gt_i32_e64 s5, s65, v10
                                        ; implicit-def: $vgpr11
	s_and_saveexec_b32 s6, s5
	s_cbranch_execz .LBB7_9
; %bb.8:
	global_load_b64 v[10:11], v[130:131], off offset:8192
.LBB7_9:
	s_or_b32 exec_lo, exec_lo, s6
	v_add_nc_u32_e32 v12, 0x500, v0
	s_delay_alu instid0(VALU_DEP_1)
	v_cmp_gt_i32_e64 s6, s65, v12
                                        ; implicit-def: $vgpr13
	s_and_saveexec_b32 s7, s6
	s_cbranch_execz .LBB7_11
; %bb.10:
	global_load_b64 v[12:13], v[130:131], off offset:10240
.LBB7_11:
	s_or_b32 exec_lo, exec_lo, s7
	v_add_nc_u32_e32 v14, 0x600, v0
	s_delay_alu instid0(VALU_DEP_1)
	v_cmp_gt_i32_e64 s7, s65, v14
                                        ; implicit-def: $vgpr15
	s_and_saveexec_b32 s8, s7
	s_cbranch_execz .LBB7_13
; %bb.12:
	global_load_b64 v[14:15], v[130:131], off offset:12288
.LBB7_13:
	s_or_b32 exec_lo, exec_lo, s8
	v_add_nc_u32_e32 v16, 0x700, v0
	s_delay_alu instid0(VALU_DEP_1)
	v_cmp_gt_i32_e64 s8, s65, v16
                                        ; implicit-def: $vgpr17
	s_and_saveexec_b32 s9, s8
	s_cbranch_execz .LBB7_15
; %bb.14:
	global_load_b64 v[16:17], v[130:131], off offset:14336
.LBB7_15:
	s_or_b32 exec_lo, exec_lo, s9
	v_or_b32_e32 v18, 0x800, v0
	s_delay_alu instid0(VALU_DEP_1)
	v_cmp_gt_i32_e64 s9, s65, v18
                                        ; implicit-def: $vgpr19
	s_and_saveexec_b32 s10, s9
	s_cbranch_execz .LBB7_17
; %bb.16:
	global_load_b64 v[18:19], v[130:131], off offset:16384
.LBB7_17:
	s_or_b32 exec_lo, exec_lo, s10
	v_add_nc_u32_e32 v20, 0x900, v0
	s_delay_alu instid0(VALU_DEP_1)
	v_cmp_gt_i32_e64 s10, s65, v20
                                        ; implicit-def: $vgpr21
	s_and_saveexec_b32 s11, s10
	s_cbranch_execz .LBB7_19
; %bb.18:
	global_load_b64 v[20:21], v[130:131], off offset:18432
.LBB7_19:
	s_or_b32 exec_lo, exec_lo, s11
	v_add_nc_u32_e32 v22, 0xa00, v0
	s_delay_alu instid0(VALU_DEP_1)
	v_cmp_gt_i32_e64 s11, s65, v22
                                        ; implicit-def: $vgpr23
	s_and_saveexec_b32 s12, s11
	s_cbranch_execz .LBB7_21
; %bb.20:
	global_load_b64 v[22:23], v[130:131], off offset:20480
.LBB7_21:
	s_or_b32 exec_lo, exec_lo, s12
	v_add_nc_u32_e32 v24, 0xb00, v0
	s_delay_alu instid0(VALU_DEP_1)
	v_cmp_gt_i32_e64 s12, s65, v24
                                        ; implicit-def: $vgpr25
	s_and_saveexec_b32 s13, s12
	s_cbranch_execz .LBB7_23
; %bb.22:
	global_load_b64 v[24:25], v[130:131], off offset:22528
.LBB7_23:
	s_or_b32 exec_lo, exec_lo, s13
	v_or_b32_e32 v26, 0xc00, v0
	s_delay_alu instid0(VALU_DEP_1)
	v_cmp_gt_i32_e64 s13, s65, v26
                                        ; implicit-def: $vgpr27
	s_and_saveexec_b32 s14, s13
	s_cbranch_execz .LBB7_25
; %bb.24:
	global_load_b64 v[26:27], v[130:131], off offset:24576
.LBB7_25:
	s_or_b32 exec_lo, exec_lo, s14
	v_add_nc_u32_e32 v28, 0xd00, v0
	s_delay_alu instid0(VALU_DEP_1)
	v_cmp_gt_i32_e64 s14, s65, v28
                                        ; implicit-def: $vgpr29
	s_and_saveexec_b32 s15, s14
	s_cbranch_execz .LBB7_27
; %bb.26:
	global_load_b64 v[28:29], v[130:131], off offset:26624
.LBB7_27:
	s_or_b32 exec_lo, exec_lo, s15
	v_add_nc_u32_e32 v30, 0xe00, v0
	s_delay_alu instid0(VALU_DEP_1)
	v_cmp_gt_i32_e64 s15, s65, v30
                                        ; implicit-def: $vgpr31
	s_and_saveexec_b32 s16, s15
	s_cbranch_execz .LBB7_29
; %bb.28:
	global_load_b64 v[30:31], v[130:131], off offset:28672
.LBB7_29:
	s_or_b32 exec_lo, exec_lo, s16
	v_add_nc_u32_e32 v32, 0xf00, v0
	s_delay_alu instid0(VALU_DEP_1)
	v_cmp_gt_i32_e64 s16, s65, v32
                                        ; implicit-def: $vgpr33
	s_and_saveexec_b32 s17, s16
	s_cbranch_execz .LBB7_31
; %bb.30:
	global_load_b64 v[32:33], v[130:131], off offset:30720
.LBB7_31:
	s_or_b32 exec_lo, exec_lo, s17
	v_or_b32_e32 v34, 0x1000, v0
	s_delay_alu instid0(VALU_DEP_1)
	v_cmp_gt_i32_e64 s17, s65, v34
                                        ; implicit-def: $vgpr35
	s_and_saveexec_b32 s18, s17
	s_cbranch_execz .LBB7_33
; %bb.32:
	global_load_b64 v[34:35], v[130:131], off offset:32768
.LBB7_33:
	s_or_b32 exec_lo, exec_lo, s18
	v_add_nc_u32_e32 v36, 0x1100, v0
	s_delay_alu instid0(VALU_DEP_1)
	v_cmp_gt_i32_e64 s18, s65, v36
                                        ; implicit-def: $vgpr37
	s_and_saveexec_b32 s19, s18
	s_cbranch_execz .LBB7_35
; %bb.34:
	global_load_b64 v[36:37], v[130:131], off offset:34816
.LBB7_35:
	s_or_b32 exec_lo, exec_lo, s19
	v_add_nc_u32_e32 v38, 0x1200, v0
	s_delay_alu instid0(VALU_DEP_1)
	v_cmp_gt_i32_e64 s19, s65, v38
                                        ; implicit-def: $vgpr39
	s_and_saveexec_b32 s20, s19
	s_cbranch_execz .LBB7_37
; %bb.36:
	global_load_b64 v[38:39], v[130:131], off offset:36864
.LBB7_37:
	s_or_b32 exec_lo, exec_lo, s20
	v_add_nc_u32_e32 v40, 0x1300, v0
	s_delay_alu instid0(VALU_DEP_1)
	v_cmp_gt_i32_e64 s20, s65, v40
                                        ; implicit-def: $vgpr41
	s_and_saveexec_b32 s21, s20
	s_cbranch_execz .LBB7_39
; %bb.38:
	global_load_b64 v[40:41], v[130:131], off offset:38912
.LBB7_39:
	s_or_b32 exec_lo, exec_lo, s21
	v_or_b32_e32 v42, 0x1400, v0
	s_delay_alu instid0(VALU_DEP_1)
	v_cmp_gt_i32_e64 s21, s65, v42
                                        ; implicit-def: $vgpr43
	s_and_saveexec_b32 s22, s21
	s_cbranch_execz .LBB7_41
; %bb.40:
	global_load_b64 v[42:43], v[130:131], off offset:40960
.LBB7_41:
	s_or_b32 exec_lo, exec_lo, s22
	v_add_nc_u32_e32 v44, 0x1500, v0
	s_delay_alu instid0(VALU_DEP_1)
	v_cmp_gt_i32_e64 s22, s65, v44
                                        ; implicit-def: $vgpr45
	s_and_saveexec_b32 s23, s22
	s_cbranch_execz .LBB7_43
; %bb.42:
	global_load_b64 v[44:45], v[130:131], off offset:43008
.LBB7_43:
	s_or_b32 exec_lo, exec_lo, s23
	v_add_nc_u32_e32 v46, 0x1600, v0
	s_delay_alu instid0(VALU_DEP_1)
	v_cmp_gt_i32_e64 s23, s65, v46
                                        ; implicit-def: $vgpr47
	s_and_saveexec_b32 s24, s23
	s_cbranch_execz .LBB7_45
; %bb.44:
	global_load_b64 v[46:47], v[130:131], off offset:45056
.LBB7_45:
	s_or_b32 exec_lo, exec_lo, s24
	v_add_nc_u32_e32 v48, 0x1700, v0
	s_delay_alu instid0(VALU_DEP_1)
	v_cmp_gt_i32_e64 s24, s65, v48
                                        ; implicit-def: $vgpr49
	s_and_saveexec_b32 s25, s24
	s_cbranch_execz .LBB7_47
; %bb.46:
	global_load_b64 v[48:49], v[130:131], off offset:47104
.LBB7_47:
	s_or_b32 exec_lo, exec_lo, s25
	v_or_b32_e32 v50, 0x1800, v0
	s_delay_alu instid0(VALU_DEP_1)
	v_cmp_gt_i32_e64 s25, s65, v50
                                        ; implicit-def: $vgpr51
	s_and_saveexec_b32 s26, s25
	s_cbranch_execz .LBB7_49
; %bb.48:
	global_load_b64 v[50:51], v[130:131], off offset:49152
.LBB7_49:
	s_or_b32 exec_lo, exec_lo, s26
	v_add_nc_u32_e32 v52, 0x1900, v0
	s_delay_alu instid0(VALU_DEP_1)
	v_cmp_gt_i32_e64 s26, s65, v52
                                        ; implicit-def: $vgpr53
	s_and_saveexec_b32 s27, s26
	s_cbranch_execz .LBB7_51
; %bb.50:
	global_load_b64 v[52:53], v[130:131], off offset:51200
.LBB7_51:
	s_or_b32 exec_lo, exec_lo, s27
	v_add_nc_u32_e32 v54, 0x1a00, v0
	s_delay_alu instid0(VALU_DEP_1)
	v_cmp_gt_i32_e64 s27, s65, v54
                                        ; implicit-def: $vgpr55
	s_and_saveexec_b32 s28, s27
	s_cbranch_execz .LBB7_53
; %bb.52:
	global_load_b64 v[54:55], v[130:131], off offset:53248
.LBB7_53:
	s_or_b32 exec_lo, exec_lo, s28
	v_add_nc_u32_e32 v56, 0x1b00, v0
	s_delay_alu instid0(VALU_DEP_1)
	v_cmp_gt_i32_e64 s28, s65, v56
                                        ; implicit-def: $vgpr57
	s_and_saveexec_b32 s29, s28
	s_cbranch_execz .LBB7_55
; %bb.54:
	global_load_b64 v[56:57], v[130:131], off offset:55296
.LBB7_55:
	s_or_b32 exec_lo, exec_lo, s29
	v_or_b32_e32 v58, 0x1c00, v0
	s_delay_alu instid0(VALU_DEP_1)
	v_cmp_gt_i32_e64 s29, s65, v58
                                        ; implicit-def: $vgpr59
	s_and_saveexec_b32 s30, s29
	s_cbranch_execz .LBB7_57
; %bb.56:
	global_load_b64 v[58:59], v[130:131], off offset:57344
.LBB7_57:
	s_or_b32 exec_lo, exec_lo, s30
	v_add_nc_u32_e32 v60, 0x1d00, v0
	s_delay_alu instid0(VALU_DEP_1)
	v_cmp_gt_i32_e64 s30, s65, v60
                                        ; implicit-def: $vgpr61
	s_and_saveexec_b32 s31, s30
	s_cbranch_execz .LBB7_59
; %bb.58:
	global_load_b64 v[60:61], v[130:131], off offset:59392
.LBB7_59:
	s_or_b32 exec_lo, exec_lo, s31
	v_add_nc_u32_e32 v62, 0x1e00, v0
	s_delay_alu instid0(VALU_DEP_1)
	v_cmp_gt_i32_e64 s31, s65, v62
                                        ; implicit-def: $vgpr63
	s_and_saveexec_b32 s33, s31
	s_cbranch_execz .LBB7_61
; %bb.60:
	global_load_b64 v[62:63], v[130:131], off offset:61440
.LBB7_61:
	s_or_b32 exec_lo, exec_lo, s33
	v_add_nc_u32_e32 v64, 0x1f00, v0
	s_delay_alu instid0(VALU_DEP_1)
	v_cmp_gt_i32_e64 s33, s65, v64
                                        ; implicit-def: $vgpr65
	s_and_saveexec_b32 s34, s33
	s_cbranch_execz .LBB7_63
; %bb.62:
	global_load_b64 v[64:65], v[130:131], off offset:63488
.LBB7_63:
	s_or_b32 exec_lo, exec_lo, s34
	v_or_b32_e32 v66, 0x2000, v0
	s_delay_alu instid0(VALU_DEP_1)
	v_cmp_gt_i32_e64 s34, s65, v66
                                        ; implicit-def: $vgpr67
	s_and_saveexec_b32 s35, s34
	s_cbranch_execz .LBB7_65
; %bb.64:
	global_load_b64 v[66:67], v[130:131], off offset:65536
.LBB7_65:
	s_or_b32 exec_lo, exec_lo, s35
	v_add_nc_u32_e32 v68, 0x2100, v0
	s_delay_alu instid0(VALU_DEP_1)
	v_cmp_gt_i32_e64 s35, s65, v68
                                        ; implicit-def: $vgpr69
	s_and_saveexec_b32 s36, s35
	s_cbranch_execz .LBB7_67
; %bb.66:
	global_load_b64 v[68:69], v[130:131], off offset:67584
.LBB7_67:
	s_or_b32 exec_lo, exec_lo, s36
	v_add_nc_u32_e32 v70, 0x2200, v0
	s_delay_alu instid0(VALU_DEP_1)
	v_cmp_gt_i32_e64 s36, s65, v70
                                        ; implicit-def: $vgpr71
	s_and_saveexec_b32 s37, s36
	s_cbranch_execz .LBB7_69
; %bb.68:
	global_load_b64 v[70:71], v[130:131], off offset:69632
.LBB7_69:
	s_or_b32 exec_lo, exec_lo, s37
	v_add_nc_u32_e32 v72, 0x2300, v0
	s_delay_alu instid0(VALU_DEP_1)
	v_cmp_gt_i32_e64 s37, s65, v72
                                        ; implicit-def: $vgpr73
	s_and_saveexec_b32 s38, s37
	s_cbranch_execz .LBB7_71
; %bb.70:
	global_load_b64 v[72:73], v[130:131], off offset:71680
.LBB7_71:
	s_or_b32 exec_lo, exec_lo, s38
	v_or_b32_e32 v74, 0x2400, v0
	s_delay_alu instid0(VALU_DEP_1)
	v_cmp_gt_i32_e64 s38, s65, v74
                                        ; implicit-def: $vgpr75
	s_and_saveexec_b32 s39, s38
	s_cbranch_execz .LBB7_73
; %bb.72:
	global_load_b64 v[74:75], v[130:131], off offset:73728
.LBB7_73:
	s_or_b32 exec_lo, exec_lo, s39
	v_add_nc_u32_e32 v76, 0x2500, v0
	s_delay_alu instid0(VALU_DEP_1)
	v_cmp_gt_i32_e64 s39, s65, v76
                                        ; implicit-def: $vgpr77
	s_and_saveexec_b32 s40, s39
	s_cbranch_execz .LBB7_75
; %bb.74:
	global_load_b64 v[76:77], v[130:131], off offset:75776
.LBB7_75:
	s_or_b32 exec_lo, exec_lo, s40
	v_add_nc_u32_e32 v78, 0x2600, v0
	s_delay_alu instid0(VALU_DEP_1)
	v_cmp_gt_i32_e64 s40, s65, v78
                                        ; implicit-def: $vgpr79
	s_and_saveexec_b32 s41, s40
	s_cbranch_execz .LBB7_77
; %bb.76:
	global_load_b64 v[78:79], v[130:131], off offset:77824
.LBB7_77:
	s_or_b32 exec_lo, exec_lo, s41
	v_add_nc_u32_e32 v80, 0x2700, v0
	s_delay_alu instid0(VALU_DEP_1)
	v_cmp_gt_i32_e64 s41, s65, v80
                                        ; implicit-def: $vgpr81
	s_and_saveexec_b32 s42, s41
	s_cbranch_execz .LBB7_79
; %bb.78:
	global_load_b64 v[80:81], v[130:131], off offset:79872
.LBB7_79:
	s_or_b32 exec_lo, exec_lo, s42
	v_or_b32_e32 v82, 0x2800, v0
	s_delay_alu instid0(VALU_DEP_1)
	v_cmp_gt_i32_e64 s42, s65, v82
                                        ; implicit-def: $vgpr83
	s_and_saveexec_b32 s43, s42
	s_cbranch_execz .LBB7_81
; %bb.80:
	global_load_b64 v[82:83], v[130:131], off offset:81920
.LBB7_81:
	s_or_b32 exec_lo, exec_lo, s43
	v_add_nc_u32_e32 v84, 0x2900, v0
	s_delay_alu instid0(VALU_DEP_1)
	v_cmp_gt_i32_e64 s43, s65, v84
                                        ; implicit-def: $vgpr85
	s_and_saveexec_b32 s44, s43
	s_cbranch_execz .LBB7_83
; %bb.82:
	global_load_b64 v[84:85], v[130:131], off offset:83968
.LBB7_83:
	s_or_b32 exec_lo, exec_lo, s44
	v_add_nc_u32_e32 v86, 0x2a00, v0
	s_delay_alu instid0(VALU_DEP_1)
	v_cmp_gt_i32_e64 s44, s65, v86
                                        ; implicit-def: $vgpr87
	s_and_saveexec_b32 s45, s44
	s_cbranch_execz .LBB7_85
; %bb.84:
	global_load_b64 v[86:87], v[130:131], off offset:86016
.LBB7_85:
	s_or_b32 exec_lo, exec_lo, s45
	v_add_nc_u32_e32 v88, 0x2b00, v0
	s_delay_alu instid0(VALU_DEP_1)
	v_cmp_gt_i32_e64 s45, s65, v88
                                        ; implicit-def: $vgpr89
	s_and_saveexec_b32 s46, s45
	s_cbranch_execz .LBB7_87
; %bb.86:
	global_load_b64 v[88:89], v[130:131], off offset:88064
.LBB7_87:
	s_or_b32 exec_lo, exec_lo, s46
	v_or_b32_e32 v90, 0x2c00, v0
	s_delay_alu instid0(VALU_DEP_1)
	v_cmp_gt_i32_e64 s46, s65, v90
                                        ; implicit-def: $vgpr91
	s_and_saveexec_b32 s47, s46
	s_cbranch_execz .LBB7_89
; %bb.88:
	global_load_b64 v[90:91], v[130:131], off offset:90112
.LBB7_89:
	s_or_b32 exec_lo, exec_lo, s47
	v_add_nc_u32_e32 v92, 0x2d00, v0
	s_delay_alu instid0(VALU_DEP_1)
	v_cmp_gt_i32_e64 s47, s65, v92
                                        ; implicit-def: $vgpr93
	s_and_saveexec_b32 s48, s47
	s_cbranch_execz .LBB7_91
; %bb.90:
	global_load_b64 v[92:93], v[130:131], off offset:92160
.LBB7_91:
	s_or_b32 exec_lo, exec_lo, s48
	v_add_nc_u32_e32 v94, 0x2e00, v0
	s_delay_alu instid0(VALU_DEP_1)
	v_cmp_gt_i32_e64 s48, s65, v94
                                        ; implicit-def: $vgpr95
	s_and_saveexec_b32 s49, s48
	s_cbranch_execz .LBB7_93
; %bb.92:
	global_load_b64 v[94:95], v[130:131], off offset:94208
.LBB7_93:
	s_or_b32 exec_lo, exec_lo, s49
	v_add_nc_u32_e32 v96, 0x2f00, v0
	s_delay_alu instid0(VALU_DEP_1)
	v_cmp_gt_i32_e64 s49, s65, v96
                                        ; implicit-def: $vgpr97
	s_and_saveexec_b32 s50, s49
	s_cbranch_execz .LBB7_95
; %bb.94:
	global_load_b64 v[96:97], v[130:131], off offset:96256
.LBB7_95:
	s_or_b32 exec_lo, exec_lo, s50
	v_or_b32_e32 v98, 0x3000, v0
	s_delay_alu instid0(VALU_DEP_1)
	v_cmp_gt_i32_e64 s50, s65, v98
                                        ; implicit-def: $vgpr99
	s_and_saveexec_b32 s51, s50
	s_cbranch_execz .LBB7_97
; %bb.96:
	global_load_b64 v[98:99], v[130:131], off offset:98304
.LBB7_97:
	s_or_b32 exec_lo, exec_lo, s51
	v_add_nc_u32_e32 v100, 0x3100, v0
	s_delay_alu instid0(VALU_DEP_1)
	v_cmp_gt_i32_e64 s51, s65, v100
                                        ; implicit-def: $vgpr101
	s_and_saveexec_b32 s52, s51
	s_cbranch_execz .LBB7_99
; %bb.98:
	global_load_b64 v[100:101], v[130:131], off offset:100352
.LBB7_99:
	s_or_b32 exec_lo, exec_lo, s52
	v_add_nc_u32_e32 v102, 0x3200, v0
	s_delay_alu instid0(VALU_DEP_1)
	v_cmp_gt_i32_e64 s52, s65, v102
                                        ; implicit-def: $vgpr103
	s_and_saveexec_b32 s53, s52
	s_cbranch_execz .LBB7_101
; %bb.100:
	global_load_b64 v[102:103], v[130:131], off offset:102400
.LBB7_101:
	s_or_b32 exec_lo, exec_lo, s53
	v_add_nc_u32_e32 v104, 0x3300, v0
	s_delay_alu instid0(VALU_DEP_1)
	v_cmp_gt_i32_e64 s53, s65, v104
                                        ; implicit-def: $vgpr105
	s_and_saveexec_b32 s54, s53
	s_cbranch_execz .LBB7_103
; %bb.102:
	global_load_b64 v[104:105], v[130:131], off offset:104448
.LBB7_103:
	s_or_b32 exec_lo, exec_lo, s54
	v_or_b32_e32 v106, 0x3400, v0
	s_delay_alu instid0(VALU_DEP_1)
	v_cmp_gt_i32_e64 s54, s65, v106
                                        ; implicit-def: $vgpr107
	s_and_saveexec_b32 s55, s54
	s_cbranch_execz .LBB7_105
; %bb.104:
	global_load_b64 v[106:107], v[130:131], off offset:106496
.LBB7_105:
	s_or_b32 exec_lo, exec_lo, s55
	v_add_nc_u32_e32 v108, 0x3500, v0
	s_delay_alu instid0(VALU_DEP_1)
	v_cmp_gt_i32_e64 s55, s65, v108
                                        ; implicit-def: $vgpr109
	s_and_saveexec_b32 s56, s55
	s_cbranch_execz .LBB7_107
; %bb.106:
	global_load_b64 v[108:109], v[130:131], off offset:108544
.LBB7_107:
	s_or_b32 exec_lo, exec_lo, s56
	v_add_nc_u32_e32 v110, 0x3600, v0
	s_delay_alu instid0(VALU_DEP_1)
	v_cmp_gt_i32_e64 s56, s65, v110
                                        ; implicit-def: $vgpr111
	s_and_saveexec_b32 s57, s56
	s_cbranch_execz .LBB7_109
; %bb.108:
	global_load_b64 v[110:111], v[130:131], off offset:110592
.LBB7_109:
	s_or_b32 exec_lo, exec_lo, s57
	v_add_nc_u32_e32 v112, 0x3700, v0
	s_delay_alu instid0(VALU_DEP_1)
	v_cmp_gt_i32_e64 s57, s65, v112
                                        ; implicit-def: $vgpr113
	s_and_saveexec_b32 s58, s57
	s_cbranch_execz .LBB7_111
; %bb.110:
	global_load_b64 v[112:113], v[130:131], off offset:112640
.LBB7_111:
	s_or_b32 exec_lo, exec_lo, s58
	v_or_b32_e32 v114, 0x3800, v0
	s_delay_alu instid0(VALU_DEP_1)
	v_cmp_gt_i32_e64 s58, s65, v114
                                        ; implicit-def: $vgpr115
	s_and_saveexec_b32 s59, s58
	s_cbranch_execz .LBB7_113
; %bb.112:
	global_load_b64 v[114:115], v[130:131], off offset:114688
.LBB7_113:
	s_or_b32 exec_lo, exec_lo, s59
	v_add_nc_u32_e32 v116, 0x3900, v0
	s_delay_alu instid0(VALU_DEP_1)
	v_cmp_gt_i32_e64 s59, s65, v116
                                        ; implicit-def: $vgpr117
	s_and_saveexec_b32 s60, s59
	s_cbranch_execz .LBB7_115
; %bb.114:
	global_load_b64 v[116:117], v[130:131], off offset:116736
.LBB7_115:
	s_or_b32 exec_lo, exec_lo, s60
	v_add_nc_u32_e32 v118, 0x3a00, v0
	s_delay_alu instid0(VALU_DEP_1)
	v_cmp_gt_i32_e64 s60, s65, v118
                                        ; implicit-def: $vgpr119
	s_and_saveexec_b32 s61, s60
	s_cbranch_execz .LBB7_117
; %bb.116:
	global_load_b64 v[118:119], v[130:131], off offset:118784
.LBB7_117:
	s_or_b32 exec_lo, exec_lo, s61
	v_add_nc_u32_e32 v120, 0x3b00, v0
	s_delay_alu instid0(VALU_DEP_1)
	v_cmp_gt_i32_e64 s61, s65, v120
                                        ; implicit-def: $vgpr121
	s_and_saveexec_b32 s62, s61
	s_cbranch_execz .LBB7_119
; %bb.118:
	global_load_b64 v[120:121], v[130:131], off offset:120832
.LBB7_119:
	s_or_b32 exec_lo, exec_lo, s62
	v_or_b32_e32 v122, 0x3c00, v0
	s_delay_alu instid0(VALU_DEP_1)
	v_cmp_gt_i32_e64 s62, s65, v122
                                        ; implicit-def: $vgpr123
	s_and_saveexec_b32 s63, s62
	s_cbranch_execz .LBB7_121
; %bb.120:
	global_load_b64 v[122:123], v[130:131], off offset:122880
.LBB7_121:
	s_or_b32 exec_lo, exec_lo, s63
	v_add_nc_u32_e32 v124, 0x3d00, v0
	s_delay_alu instid0(VALU_DEP_1)
	v_cmp_gt_i32_e64 s63, s65, v124
                                        ; implicit-def: $vgpr125
	s_and_saveexec_b32 s64, s63
	s_cbranch_execz .LBB7_123
; %bb.122:
	global_load_b64 v[124:125], v[130:131], off offset:124928
.LBB7_123:
	s_wait_alu 0xfffe
	s_or_b32 exec_lo, exec_lo, s64
	s_load_b64 s[66:67], s[0:1], 0x10
	v_add_nc_u32_e32 v126, 0x3e00, v0
	s_delay_alu instid0(VALU_DEP_1)
	v_cmp_gt_i32_e64 s64, s65, v126
                                        ; implicit-def: $vgpr127
	s_and_saveexec_b32 s68, s64
	s_cbranch_execz .LBB7_125
; %bb.124:
	global_load_b64 v[126:127], v[130:131], off offset:126976
.LBB7_125:
	s_or_b32 exec_lo, exec_lo, s68
	s_load_b64 s[68:69], s[0:1], 0x0
	v_add_nc_u32_e32 v128, 0x3f00, v0
	s_delay_alu instid0(VALU_DEP_1)
	v_cmp_gt_i32_e64 s0, s65, v128
                                        ; implicit-def: $vgpr129
	s_and_saveexec_b32 s1, s0
	s_cbranch_execz .LBB7_127
; %bb.126:
	global_load_b64 v[128:129], v[130:131], off offset:129024
.LBB7_127:
	s_wait_alu 0xfffe
	s_or_b32 exec_lo, exec_lo, s1
	v_dual_mov_b32 v130, 0 :: v_dual_mov_b32 v137, 0
	s_wait_kmcnt 0x0
	s_load_b64 s[70:71], s[66:67], 0x12b8
	v_dual_mov_b32 v138, 0 :: v_dual_mov_b32 v151, 0
	scratch_store_b32 off, v130, off        ; 4-byte Folded Spill
	v_dual_mov_b32 v130, 0 :: v_dual_mov_b32 v139, 0
	v_dual_mov_b32 v140, 0 :: v_dual_mov_b32 v153, 0
	v_mov_b32_e32 v141, 0
	scratch_store_b32 off, v130, off offset:4 ; 4-byte Folded Spill
	v_mov_b32_e32 v130, 0
	v_dual_mov_b32 v142, 0 :: v_dual_mov_b32 v155, 0
	v_dual_mov_b32 v143, 0 :: v_dual_mov_b32 v144, 0
	v_mov_b32_e32 v157, 0
	scratch_store_b32 off, v130, off offset:8 ; 4-byte Folded Spill
	v_dual_mov_b32 v130, 0 :: v_dual_mov_b32 v145, 0
	v_dual_mov_b32 v146, 0 :: v_dual_mov_b32 v159, 0
	;; [unrolled: 1-line block ×3, first 2 shown]
	scratch_store_b32 off, v130, off offset:12 ; 4-byte Folded Spill
	v_dual_mov_b32 v130, 0 :: v_dual_mov_b32 v147, 0
	v_dual_mov_b32 v150, 0 :: v_dual_mov_b32 v163, 0
	v_mov_b32_e32 v149, 0
	scratch_store_b32 off, v130, off offset:16 ; 4-byte Folded Spill
	v_mov_b32_e32 v130, 0
	v_dual_mov_b32 v152, 0 :: v_dual_mov_b32 v165, 0
	v_dual_mov_b32 v154, 0 :: v_dual_mov_b32 v167, 0
	scratch_store_b32 off, v130, off offset:20 ; 4-byte Folded Spill
	v_mov_b32_e32 v130, 0
	v_dual_mov_b32 v156, 0 :: v_dual_mov_b32 v169, 0
	v_dual_mov_b32 v158, 0 :: v_dual_mov_b32 v171, 0
	scratch_store_b32 off, v130, off offset:24 ; 4-byte Folded Spill
	v_dual_mov_b32 v160, 0 :: v_dual_mov_b32 v173, 0
	v_dual_mov_b32 v162, 0 :: v_dual_mov_b32 v175, 0
	;; [unrolled: 1-line block ×11, first 2 shown]
	v_mov_b32_e32 v182, 0
	v_mov_b32_e32 v184, 0
	;; [unrolled: 1-line block ×6, first 2 shown]
	s_mov_b64 s[72:73], 0
	s_wait_kmcnt 0x0
	s_mov_b32 s74, s70
.LBB7_128:                              ; =>This Inner Loop Header: Depth=1
	s_delay_alu instid0(SALU_CYCLE_1)
	s_mov_b32 s1, s74
	s_add_nc_u64 s[74:75], s[66:67], s[72:73]
	s_load_b64 s[74:75], s[74:75], 0x0
	s_wait_kmcnt 0x0
	s_sub_f32 s1, s1, s74
	s_sub_f32 s65, s71, s75
	s_wait_alu 0xfffe
	s_delay_alu instid0(SALU_CYCLE_2) | instskip(NEXT) | instid1(VALU_DEP_1)
	v_div_scale_f32 v132, null, s65, s65, s1
	v_xor_b32_e32 v133, 0x80000000, v132
	v_rcp_f32_e32 v132, v132
	s_delay_alu instid0(TRANS32_DEP_1) | instskip(NEXT) | instid1(VALU_DEP_1)
	v_fma_f32 v134, v133, v132, 1.0
	v_fmac_f32_e32 v132, v134, v132
	v_div_scale_f32 v134, vcc_lo, s1, s65, s1
	s_delay_alu instid0(VALU_DEP_1) | instskip(NEXT) | instid1(VALU_DEP_1)
	v_mul_f32_e32 v135, v134, v132
	v_fma_f32 v136, v133, v135, v134
	s_delay_alu instid0(VALU_DEP_1) | instskip(NEXT) | instid1(VALU_DEP_1)
	v_fmac_f32_e32 v135, v136, v132
	v_fmac_f32_e32 v134, v133, v135
	s_wait_alu 0xfffd
	s_delay_alu instid0(VALU_DEP_1) | instskip(SKIP_2) | instid1(VALU_DEP_2)
	v_div_fmas_f32 v132, v134, v132, v135
	s_wait_loadcnt 0x0
	v_cmp_gt_f32_e32 vcc_lo, s75, v3
	v_div_fixup_f32 v132, v132, s65, s1
	v_cmp_ngt_f32_e64 s1, s71, v3
	s_xor_b32 s1, vcc_lo, s1
	s_wait_alu 0xfffe
	s_xor_b32 s65, s1, -1
	s_wait_alu 0xfffe
	s_and_saveexec_b32 s1, s65
	s_cbranch_execz .LBB7_132
; %bb.129:                              ;   in Loop: Header=BB7_128 Depth=1
	v_subrev_f32_e32 v133, s75, v3
	s_mov_b32 s65, exec_lo
	s_delay_alu instid0(VALU_DEP_1) | instskip(NEXT) | instid1(VALU_DEP_1)
	v_fma_f32 v133, v132, v133, s74
	v_cmpx_lt_f32_e32 v2, v133
; %bb.130:                              ;   in Loop: Header=BB7_128 Depth=1
	v_cmp_eq_u32_e32 vcc_lo, 0, v131
	s_wait_alu 0xfffd
	v_cndmask_b32_e64 v131, 0, 1, vcc_lo
; %bb.131:                              ;   in Loop: Header=BB7_128 Depth=1
	s_wait_alu 0xfffe
	s_or_b32 exec_lo, exec_lo, s65
.LBB7_132:                              ;   in Loop: Header=BB7_128 Depth=1
	s_wait_alu 0xfffe
	s_or_b32 exec_lo, exec_lo, s1
	v_cmp_gt_f32_e32 vcc_lo, s75, v5
	v_cmp_ngt_f32_e64 s1, s71, v5
	s_xor_b32 s1, vcc_lo, s1
	s_wait_alu 0xfffe
	s_xor_b32 s65, s1, -1
	s_wait_alu 0xfffe
	s_and_saveexec_b32 s1, s65
	s_cbranch_execz .LBB7_136
; %bb.133:                              ;   in Loop: Header=BB7_128 Depth=1
	v_subrev_f32_e32 v133, s75, v5
	s_mov_b32 s65, exec_lo
	s_delay_alu instid0(VALU_DEP_1) | instskip(NEXT) | instid1(VALU_DEP_1)
	v_fma_f32 v133, v132, v133, s74
	v_cmpx_lt_f32_e32 v4, v133
; %bb.134:                              ;   in Loop: Header=BB7_128 Depth=1
	v_cmp_eq_u32_e32 vcc_lo, 0, v130
	s_wait_alu 0xfffd
	v_cndmask_b32_e64 v130, 0, 1, vcc_lo
; %bb.135:                              ;   in Loop: Header=BB7_128 Depth=1
	s_wait_alu 0xfffe
	s_or_b32 exec_lo, exec_lo, s65
.LBB7_136:                              ;   in Loop: Header=BB7_128 Depth=1
	s_wait_alu 0xfffe
	s_or_b32 exec_lo, exec_lo, s1
	v_cmp_gt_f32_e32 vcc_lo, s75, v7
	;; [unrolled: 24-line block ×57, first 2 shown]
	v_cmp_ngt_f32_e64 s1, s71, v117
	s_xor_b32 s1, vcc_lo, s1
	s_wait_alu 0xfffe
	s_xor_b32 s65, s1, -1
	s_wait_alu 0xfffe
	s_and_saveexec_b32 s1, s65
	s_cbranch_execz .LBB7_360
; %bb.357:                              ;   in Loop: Header=BB7_128 Depth=1
	v_subrev_f32_e32 v133, s75, v117
	s_mov_b32 s65, exec_lo
	s_delay_alu instid0(VALU_DEP_1) | instskip(NEXT) | instid1(VALU_DEP_1)
	v_fma_f32 v133, v132, v133, s74
	v_cmpx_lt_f32_e32 v116, v133
	s_cbranch_execz .LBB7_359
; %bb.358:                              ;   in Loop: Header=BB7_128 Depth=1
	scratch_load_b32 v133, off, off offset:24 th:TH_LOAD_LU ; 4-byte Folded Reload
	s_wait_loadcnt 0x0
	v_cmp_eq_u32_e32 vcc_lo, 0, v133
	s_wait_alu 0xfffd
	v_cndmask_b32_e64 v133, 0, 1, vcc_lo
	scratch_store_b32 off, v133, off offset:24 ; 4-byte Folded Spill
.LBB7_359:                              ;   in Loop: Header=BB7_128 Depth=1
	s_wait_alu 0xfffe
	s_or_b32 exec_lo, exec_lo, s65
.LBB7_360:                              ;   in Loop: Header=BB7_128 Depth=1
	s_wait_alu 0xfffe
	s_or_b32 exec_lo, exec_lo, s1
	v_cmp_gt_f32_e32 vcc_lo, s75, v119
	v_cmp_ngt_f32_e64 s1, s71, v119
	s_xor_b32 s1, vcc_lo, s1
	s_wait_alu 0xfffe
	s_xor_b32 s65, s1, -1
	s_wait_alu 0xfffe
	s_and_saveexec_b32 s1, s65
	s_cbranch_execz .LBB7_364
; %bb.361:                              ;   in Loop: Header=BB7_128 Depth=1
	v_subrev_f32_e32 v133, s75, v119
	s_mov_b32 s65, exec_lo
	s_delay_alu instid0(VALU_DEP_1) | instskip(NEXT) | instid1(VALU_DEP_1)
	v_fma_f32 v133, v132, v133, s74
	v_cmpx_lt_f32_e32 v118, v133
	s_cbranch_execz .LBB7_363
; %bb.362:                              ;   in Loop: Header=BB7_128 Depth=1
	scratch_load_b32 v133, off, off offset:20 th:TH_LOAD_LU ; 4-byte Folded Reload
	s_wait_loadcnt 0x0
	v_cmp_eq_u32_e32 vcc_lo, 0, v133
	s_wait_alu 0xfffd
	v_cndmask_b32_e64 v133, 0, 1, vcc_lo
	scratch_store_b32 off, v133, off offset:20 ; 4-byte Folded Spill
.LBB7_363:                              ;   in Loop: Header=BB7_128 Depth=1
	s_wait_alu 0xfffe
	s_or_b32 exec_lo, exec_lo, s65
.LBB7_364:                              ;   in Loop: Header=BB7_128 Depth=1
	s_wait_alu 0xfffe
	s_or_b32 exec_lo, exec_lo, s1
	v_cmp_gt_f32_e32 vcc_lo, s75, v121
	;; [unrolled: 28-line block ×6, first 2 shown]
	v_cmp_ngt_f32_e64 s1, s71, v129
	s_xor_b32 s1, vcc_lo, s1
	s_wait_alu 0xfffe
	s_xor_b32 s65, s1, -1
	s_wait_alu 0xfffe
	s_and_saveexec_b32 s1, s65
	s_cbranch_execz .LBB7_384
; %bb.381:                              ;   in Loop: Header=BB7_128 Depth=1
	v_subrev_f32_e32 v133, s75, v129
	s_mov_b32 s65, exec_lo
	s_delay_alu instid0(VALU_DEP_1) | instskip(NEXT) | instid1(VALU_DEP_1)
	v_fma_f32 v132, v132, v133, s74
	v_cmpx_lt_f32_e32 v128, v132
	s_cbranch_execz .LBB7_383
; %bb.382:                              ;   in Loop: Header=BB7_128 Depth=1
	scratch_load_b32 v132, off, off th:TH_LOAD_LU ; 4-byte Folded Reload
	s_wait_loadcnt 0x0
	v_cmp_eq_u32_e32 vcc_lo, 0, v132
	s_wait_alu 0xfffd
	v_cndmask_b32_e64 v132, 0, 1, vcc_lo
	scratch_store_b32 off, v132, off        ; 4-byte Folded Spill
.LBB7_383:                              ;   in Loop: Header=BB7_128 Depth=1
	s_wait_alu 0xfffe
	s_or_b32 exec_lo, exec_lo, s65
.LBB7_384:                              ;   in Loop: Header=BB7_128 Depth=1
	s_wait_alu 0xfffe
	s_or_b32 exec_lo, exec_lo, s1
	s_add_nc_u64 s[72:73], s[72:73], 8
	s_delay_alu instid0(SALU_CYCLE_1)
	s_cmp_lg_u32 s72, 0x12c0
	s_cbranch_scc0 .LBB7_386
; %bb.385:                              ;   in Loop: Header=BB7_128 Depth=1
	s_mov_b32 s71, s75
	s_branch .LBB7_128
.LBB7_386:
	v_lshlrev_b64_e32 v[0:1], 2, v[0:1]
	s_delay_alu instid0(VALU_DEP_1) | instskip(SKIP_1) | instid1(VALU_DEP_2)
	v_add_co_u32 v0, vcc_lo, s68, v0
	s_wait_alu 0xfffd
	v_add_co_ci_u32_e64 v1, null, s69, v1, vcc_lo
	global_store_b32 v[0:1], v131, off
	s_and_saveexec_b32 s1, s2
	s_cbranch_execnz .LBB7_451
; %bb.387:
	s_wait_alu 0xfffe
	s_or_b32 exec_lo, exec_lo, s1
	s_and_saveexec_b32 s1, s3
	s_cbranch_execnz .LBB7_452
.LBB7_388:
	s_wait_alu 0xfffe
	s_or_b32 exec_lo, exec_lo, s1
	s_and_saveexec_b32 s1, s4
	s_cbranch_execnz .LBB7_453
.LBB7_389:
	s_wait_alu 0xfffe
	s_or_b32 exec_lo, exec_lo, s1
	s_and_saveexec_b32 s1, s5
	s_cbranch_execnz .LBB7_454
.LBB7_390:
	s_wait_alu 0xfffe
	s_or_b32 exec_lo, exec_lo, s1
	s_and_saveexec_b32 s1, s6
	s_cbranch_execnz .LBB7_455
.LBB7_391:
	s_wait_alu 0xfffe
	s_or_b32 exec_lo, exec_lo, s1
	s_and_saveexec_b32 s1, s7
	s_cbranch_execnz .LBB7_456
.LBB7_392:
	s_wait_alu 0xfffe
	s_or_b32 exec_lo, exec_lo, s1
	s_and_saveexec_b32 s1, s8
	s_cbranch_execnz .LBB7_457
.LBB7_393:
	s_wait_alu 0xfffe
	s_or_b32 exec_lo, exec_lo, s1
	s_and_saveexec_b32 s1, s9
	s_cbranch_execnz .LBB7_458
.LBB7_394:
	s_wait_alu 0xfffe
	s_or_b32 exec_lo, exec_lo, s1
	s_and_saveexec_b32 s1, s10
	s_cbranch_execnz .LBB7_459
.LBB7_395:
	s_wait_alu 0xfffe
	s_or_b32 exec_lo, exec_lo, s1
	s_and_saveexec_b32 s1, s11
	s_cbranch_execnz .LBB7_460
.LBB7_396:
	s_wait_alu 0xfffe
	s_or_b32 exec_lo, exec_lo, s1
	s_and_saveexec_b32 s1, s12
	s_cbranch_execnz .LBB7_461
.LBB7_397:
	s_wait_alu 0xfffe
	s_or_b32 exec_lo, exec_lo, s1
	s_and_saveexec_b32 s1, s13
	s_cbranch_execnz .LBB7_462
.LBB7_398:
	s_wait_alu 0xfffe
	s_or_b32 exec_lo, exec_lo, s1
	s_and_saveexec_b32 s1, s14
	s_cbranch_execnz .LBB7_463
.LBB7_399:
	s_wait_alu 0xfffe
	s_or_b32 exec_lo, exec_lo, s1
	s_and_saveexec_b32 s1, s15
	s_cbranch_execnz .LBB7_464
.LBB7_400:
	s_wait_alu 0xfffe
	s_or_b32 exec_lo, exec_lo, s1
	s_and_saveexec_b32 s1, s16
	s_cbranch_execnz .LBB7_465
.LBB7_401:
	s_wait_alu 0xfffe
	s_or_b32 exec_lo, exec_lo, s1
	s_and_saveexec_b32 s1, s17
	s_cbranch_execnz .LBB7_466
.LBB7_402:
	s_wait_alu 0xfffe
	s_or_b32 exec_lo, exec_lo, s1
	s_and_saveexec_b32 s1, s18
	s_cbranch_execnz .LBB7_467
.LBB7_403:
	s_wait_alu 0xfffe
	s_or_b32 exec_lo, exec_lo, s1
	s_and_saveexec_b32 s1, s19
	s_cbranch_execnz .LBB7_468
.LBB7_404:
	s_wait_alu 0xfffe
	s_or_b32 exec_lo, exec_lo, s1
	s_and_saveexec_b32 s1, s20
	s_cbranch_execnz .LBB7_469
.LBB7_405:
	s_wait_alu 0xfffe
	s_or_b32 exec_lo, exec_lo, s1
	s_and_saveexec_b32 s1, s21
	s_cbranch_execnz .LBB7_470
.LBB7_406:
	s_wait_alu 0xfffe
	s_or_b32 exec_lo, exec_lo, s1
	s_and_saveexec_b32 s1, s22
	s_cbranch_execnz .LBB7_471
.LBB7_407:
	s_wait_alu 0xfffe
	s_or_b32 exec_lo, exec_lo, s1
	s_and_saveexec_b32 s1, s23
	s_cbranch_execnz .LBB7_472
.LBB7_408:
	s_wait_alu 0xfffe
	s_or_b32 exec_lo, exec_lo, s1
	s_and_saveexec_b32 s1, s24
	s_cbranch_execnz .LBB7_473
.LBB7_409:
	s_wait_alu 0xfffe
	s_or_b32 exec_lo, exec_lo, s1
	s_and_saveexec_b32 s1, s25
	s_cbranch_execnz .LBB7_474
.LBB7_410:
	s_wait_alu 0xfffe
	s_or_b32 exec_lo, exec_lo, s1
	s_and_saveexec_b32 s1, s26
	s_cbranch_execnz .LBB7_475
.LBB7_411:
	s_wait_alu 0xfffe
	s_or_b32 exec_lo, exec_lo, s1
	s_and_saveexec_b32 s1, s27
	s_cbranch_execnz .LBB7_476
.LBB7_412:
	s_wait_alu 0xfffe
	s_or_b32 exec_lo, exec_lo, s1
	s_and_saveexec_b32 s1, s28
	s_cbranch_execnz .LBB7_477
.LBB7_413:
	s_wait_alu 0xfffe
	s_or_b32 exec_lo, exec_lo, s1
	s_and_saveexec_b32 s1, s29
	s_cbranch_execnz .LBB7_478
.LBB7_414:
	s_wait_alu 0xfffe
	s_or_b32 exec_lo, exec_lo, s1
	s_and_saveexec_b32 s1, s30
	s_cbranch_execnz .LBB7_479
.LBB7_415:
	s_wait_alu 0xfffe
	s_or_b32 exec_lo, exec_lo, s1
	s_and_saveexec_b32 s1, s31
	s_cbranch_execnz .LBB7_480
.LBB7_416:
	s_wait_alu 0xfffe
	s_or_b32 exec_lo, exec_lo, s1
	s_and_saveexec_b32 s1, s33
	s_cbranch_execnz .LBB7_481
.LBB7_417:
	s_wait_alu 0xfffe
	s_or_b32 exec_lo, exec_lo, s1
	s_and_saveexec_b32 s1, s34
	s_cbranch_execnz .LBB7_482
.LBB7_418:
	s_wait_alu 0xfffe
	s_or_b32 exec_lo, exec_lo, s1
	s_and_saveexec_b32 s1, s35
	s_cbranch_execnz .LBB7_483
.LBB7_419:
	s_wait_alu 0xfffe
	s_or_b32 exec_lo, exec_lo, s1
	s_and_saveexec_b32 s1, s36
	s_cbranch_execnz .LBB7_484
.LBB7_420:
	s_wait_alu 0xfffe
	s_or_b32 exec_lo, exec_lo, s1
	s_and_saveexec_b32 s1, s37
	s_cbranch_execnz .LBB7_485
.LBB7_421:
	s_wait_alu 0xfffe
	s_or_b32 exec_lo, exec_lo, s1
	s_and_saveexec_b32 s1, s38
	s_cbranch_execnz .LBB7_486
.LBB7_422:
	s_wait_alu 0xfffe
	s_or_b32 exec_lo, exec_lo, s1
	s_and_saveexec_b32 s1, s39
	s_cbranch_execnz .LBB7_487
.LBB7_423:
	s_wait_alu 0xfffe
	s_or_b32 exec_lo, exec_lo, s1
	s_and_saveexec_b32 s1, s40
	s_cbranch_execnz .LBB7_488
.LBB7_424:
	s_wait_alu 0xfffe
	s_or_b32 exec_lo, exec_lo, s1
	s_and_saveexec_b32 s1, s41
	s_cbranch_execnz .LBB7_489
.LBB7_425:
	s_wait_alu 0xfffe
	s_or_b32 exec_lo, exec_lo, s1
	s_and_saveexec_b32 s1, s42
	s_cbranch_execnz .LBB7_490
.LBB7_426:
	s_wait_alu 0xfffe
	s_or_b32 exec_lo, exec_lo, s1
	s_and_saveexec_b32 s1, s43
	s_cbranch_execnz .LBB7_491
.LBB7_427:
	s_wait_alu 0xfffe
	s_or_b32 exec_lo, exec_lo, s1
	s_and_saveexec_b32 s1, s44
	s_cbranch_execnz .LBB7_492
.LBB7_428:
	s_wait_alu 0xfffe
	s_or_b32 exec_lo, exec_lo, s1
	s_and_saveexec_b32 s1, s45
	s_cbranch_execnz .LBB7_493
.LBB7_429:
	s_wait_alu 0xfffe
	s_or_b32 exec_lo, exec_lo, s1
	s_and_saveexec_b32 s1, s46
	s_cbranch_execnz .LBB7_494
.LBB7_430:
	s_wait_alu 0xfffe
	s_or_b32 exec_lo, exec_lo, s1
	s_and_saveexec_b32 s1, s47
	s_cbranch_execnz .LBB7_495
.LBB7_431:
	s_wait_alu 0xfffe
	s_or_b32 exec_lo, exec_lo, s1
	s_and_saveexec_b32 s1, s48
	s_cbranch_execnz .LBB7_496
.LBB7_432:
	s_wait_alu 0xfffe
	s_or_b32 exec_lo, exec_lo, s1
	s_and_saveexec_b32 s1, s49
	s_cbranch_execnz .LBB7_497
.LBB7_433:
	s_wait_alu 0xfffe
	s_or_b32 exec_lo, exec_lo, s1
	s_and_saveexec_b32 s1, s50
	s_cbranch_execnz .LBB7_498
.LBB7_434:
	s_wait_alu 0xfffe
	s_or_b32 exec_lo, exec_lo, s1
	s_and_saveexec_b32 s1, s51
	s_cbranch_execnz .LBB7_499
.LBB7_435:
	s_wait_alu 0xfffe
	s_or_b32 exec_lo, exec_lo, s1
	s_and_saveexec_b32 s1, s52
	s_cbranch_execnz .LBB7_500
.LBB7_436:
	s_wait_alu 0xfffe
	s_or_b32 exec_lo, exec_lo, s1
	s_and_saveexec_b32 s1, s53
	s_cbranch_execnz .LBB7_501
.LBB7_437:
	s_wait_alu 0xfffe
	s_or_b32 exec_lo, exec_lo, s1
	s_and_saveexec_b32 s1, s54
	s_cbranch_execnz .LBB7_502
.LBB7_438:
	s_wait_alu 0xfffe
	s_or_b32 exec_lo, exec_lo, s1
	s_and_saveexec_b32 s1, s55
	s_cbranch_execnz .LBB7_503
.LBB7_439:
	s_wait_alu 0xfffe
	s_or_b32 exec_lo, exec_lo, s1
	s_and_saveexec_b32 s1, s56
	s_cbranch_execnz .LBB7_504
.LBB7_440:
	s_wait_alu 0xfffe
	s_or_b32 exec_lo, exec_lo, s1
	s_and_saveexec_b32 s1, s57
	s_cbranch_execnz .LBB7_505
.LBB7_441:
	s_wait_alu 0xfffe
	s_or_b32 exec_lo, exec_lo, s1
	s_and_saveexec_b32 s1, s58
	s_cbranch_execnz .LBB7_506
.LBB7_442:
	s_wait_alu 0xfffe
	s_or_b32 exec_lo, exec_lo, s1
	s_and_saveexec_b32 s1, s59
	s_cbranch_execnz .LBB7_507
.LBB7_443:
	s_wait_alu 0xfffe
	s_or_b32 exec_lo, exec_lo, s1
	s_and_saveexec_b32 s1, s60
	s_cbranch_execnz .LBB7_508
.LBB7_444:
	s_wait_alu 0xfffe
	s_or_b32 exec_lo, exec_lo, s1
	s_and_saveexec_b32 s1, s61
	s_cbranch_execnz .LBB7_509
.LBB7_445:
	s_wait_alu 0xfffe
	s_or_b32 exec_lo, exec_lo, s1
	s_and_saveexec_b32 s1, s62
	s_cbranch_execnz .LBB7_510
.LBB7_446:
	s_wait_alu 0xfffe
	s_or_b32 exec_lo, exec_lo, s1
	s_and_saveexec_b32 s1, s63
	s_cbranch_execnz .LBB7_511
.LBB7_447:
	s_wait_alu 0xfffe
	s_or_b32 exec_lo, exec_lo, s1
	s_and_saveexec_b32 s1, s64
	s_cbranch_execnz .LBB7_512
.LBB7_448:
	s_wait_alu 0xfffe
	s_or_b32 exec_lo, exec_lo, s1
	s_delay_alu instid0(SALU_CYCLE_1)
	s_and_b32 exec_lo, exec_lo, s0
	s_cbranch_execz .LBB7_450
.LBB7_449:
	scratch_load_b32 v2, off, off th:TH_LOAD_LU ; 4-byte Folded Reload
	s_wait_loadcnt 0x0
	global_store_b32 v[0:1], v2, off offset:64512
.LBB7_450:
	s_nop 0
	s_sendmsg sendmsg(MSG_DEALLOC_VGPRS)
	s_endpgm
.LBB7_451:
	global_store_b32 v[0:1], v130, off offset:1024
	s_wait_alu 0xfffe
	s_or_b32 exec_lo, exec_lo, s1
	s_and_saveexec_b32 s1, s3
	s_cbranch_execz .LBB7_388
.LBB7_452:
	global_store_b32 v[0:1], v191, off offset:2048
	s_wait_alu 0xfffe
	s_or_b32 exec_lo, exec_lo, s1
	s_and_saveexec_b32 s1, s4
	s_cbranch_execz .LBB7_389
.LBB7_453:
	global_store_b32 v[0:1], v190, off offset:3072
	s_wait_alu 0xfffe
	s_or_b32 exec_lo, exec_lo, s1
	s_and_saveexec_b32 s1, s5
	s_cbranch_execz .LBB7_390
.LBB7_454:
	global_store_b32 v[0:1], v189, off offset:4096
	s_wait_alu 0xfffe
	s_or_b32 exec_lo, exec_lo, s1
	s_and_saveexec_b32 s1, s6
	s_cbranch_execz .LBB7_391
.LBB7_455:
	global_store_b32 v[0:1], v188, off offset:5120
	s_wait_alu 0xfffe
	s_or_b32 exec_lo, exec_lo, s1
	s_and_saveexec_b32 s1, s7
	s_cbranch_execz .LBB7_392
.LBB7_456:
	global_store_b32 v[0:1], v187, off offset:6144
	s_wait_alu 0xfffe
	s_or_b32 exec_lo, exec_lo, s1
	s_and_saveexec_b32 s1, s8
	s_cbranch_execz .LBB7_393
.LBB7_457:
	global_store_b32 v[0:1], v186, off offset:7168
	s_wait_alu 0xfffe
	s_or_b32 exec_lo, exec_lo, s1
	s_and_saveexec_b32 s1, s9
	s_cbranch_execz .LBB7_394
.LBB7_458:
	global_store_b32 v[0:1], v185, off offset:8192
	s_wait_alu 0xfffe
	s_or_b32 exec_lo, exec_lo, s1
	s_and_saveexec_b32 s1, s10
	s_cbranch_execz .LBB7_395
.LBB7_459:
	global_store_b32 v[0:1], v184, off offset:9216
	s_wait_alu 0xfffe
	s_or_b32 exec_lo, exec_lo, s1
	s_and_saveexec_b32 s1, s11
	s_cbranch_execz .LBB7_396
.LBB7_460:
	global_store_b32 v[0:1], v183, off offset:10240
	s_wait_alu 0xfffe
	s_or_b32 exec_lo, exec_lo, s1
	s_and_saveexec_b32 s1, s12
	s_cbranch_execz .LBB7_397
.LBB7_461:
	global_store_b32 v[0:1], v182, off offset:11264
	s_wait_alu 0xfffe
	s_or_b32 exec_lo, exec_lo, s1
	s_and_saveexec_b32 s1, s13
	s_cbranch_execz .LBB7_398
.LBB7_462:
	global_store_b32 v[0:1], v181, off offset:12288
	s_wait_alu 0xfffe
	s_or_b32 exec_lo, exec_lo, s1
	s_and_saveexec_b32 s1, s14
	s_cbranch_execz .LBB7_399
.LBB7_463:
	global_store_b32 v[0:1], v180, off offset:13312
	s_wait_alu 0xfffe
	s_or_b32 exec_lo, exec_lo, s1
	s_and_saveexec_b32 s1, s15
	s_cbranch_execz .LBB7_400
.LBB7_464:
	global_store_b32 v[0:1], v179, off offset:14336
	s_wait_alu 0xfffe
	s_or_b32 exec_lo, exec_lo, s1
	s_and_saveexec_b32 s1, s16
	s_cbranch_execz .LBB7_401
.LBB7_465:
	global_store_b32 v[0:1], v178, off offset:15360
	s_wait_alu 0xfffe
	s_or_b32 exec_lo, exec_lo, s1
	s_and_saveexec_b32 s1, s17
	s_cbranch_execz .LBB7_402
.LBB7_466:
	global_store_b32 v[0:1], v177, off offset:16384
	s_wait_alu 0xfffe
	s_or_b32 exec_lo, exec_lo, s1
	s_and_saveexec_b32 s1, s18
	s_cbranch_execz .LBB7_403
.LBB7_467:
	global_store_b32 v[0:1], v176, off offset:17408
	s_wait_alu 0xfffe
	s_or_b32 exec_lo, exec_lo, s1
	s_and_saveexec_b32 s1, s19
	s_cbranch_execz .LBB7_404
.LBB7_468:
	global_store_b32 v[0:1], v175, off offset:18432
	s_wait_alu 0xfffe
	s_or_b32 exec_lo, exec_lo, s1
	s_and_saveexec_b32 s1, s20
	s_cbranch_execz .LBB7_405
.LBB7_469:
	global_store_b32 v[0:1], v174, off offset:19456
	s_wait_alu 0xfffe
	s_or_b32 exec_lo, exec_lo, s1
	s_and_saveexec_b32 s1, s21
	s_cbranch_execz .LBB7_406
.LBB7_470:
	global_store_b32 v[0:1], v173, off offset:20480
	s_wait_alu 0xfffe
	s_or_b32 exec_lo, exec_lo, s1
	s_and_saveexec_b32 s1, s22
	s_cbranch_execz .LBB7_407
.LBB7_471:
	global_store_b32 v[0:1], v172, off offset:21504
	s_wait_alu 0xfffe
	s_or_b32 exec_lo, exec_lo, s1
	s_and_saveexec_b32 s1, s23
	s_cbranch_execz .LBB7_408
.LBB7_472:
	global_store_b32 v[0:1], v171, off offset:22528
	s_wait_alu 0xfffe
	s_or_b32 exec_lo, exec_lo, s1
	s_and_saveexec_b32 s1, s24
	s_cbranch_execz .LBB7_409
.LBB7_473:
	global_store_b32 v[0:1], v170, off offset:23552
	s_wait_alu 0xfffe
	s_or_b32 exec_lo, exec_lo, s1
	s_and_saveexec_b32 s1, s25
	s_cbranch_execz .LBB7_410
.LBB7_474:
	global_store_b32 v[0:1], v169, off offset:24576
	s_wait_alu 0xfffe
	s_or_b32 exec_lo, exec_lo, s1
	s_and_saveexec_b32 s1, s26
	s_cbranch_execz .LBB7_411
.LBB7_475:
	global_store_b32 v[0:1], v168, off offset:25600
	s_wait_alu 0xfffe
	s_or_b32 exec_lo, exec_lo, s1
	s_and_saveexec_b32 s1, s27
	s_cbranch_execz .LBB7_412
.LBB7_476:
	global_store_b32 v[0:1], v167, off offset:26624
	s_wait_alu 0xfffe
	s_or_b32 exec_lo, exec_lo, s1
	s_and_saveexec_b32 s1, s28
	s_cbranch_execz .LBB7_413
.LBB7_477:
	global_store_b32 v[0:1], v166, off offset:27648
	s_wait_alu 0xfffe
	s_or_b32 exec_lo, exec_lo, s1
	s_and_saveexec_b32 s1, s29
	s_cbranch_execz .LBB7_414
.LBB7_478:
	global_store_b32 v[0:1], v165, off offset:28672
	s_wait_alu 0xfffe
	s_or_b32 exec_lo, exec_lo, s1
	s_and_saveexec_b32 s1, s30
	s_cbranch_execz .LBB7_415
.LBB7_479:
	global_store_b32 v[0:1], v164, off offset:29696
	s_wait_alu 0xfffe
	s_or_b32 exec_lo, exec_lo, s1
	s_and_saveexec_b32 s1, s31
	s_cbranch_execz .LBB7_416
.LBB7_480:
	global_store_b32 v[0:1], v163, off offset:30720
	s_wait_alu 0xfffe
	s_or_b32 exec_lo, exec_lo, s1
	s_and_saveexec_b32 s1, s33
	s_cbranch_execz .LBB7_417
.LBB7_481:
	global_store_b32 v[0:1], v162, off offset:31744
	s_wait_alu 0xfffe
	s_or_b32 exec_lo, exec_lo, s1
	s_and_saveexec_b32 s1, s34
	s_cbranch_execz .LBB7_418
.LBB7_482:
	global_store_b32 v[0:1], v161, off offset:32768
	s_wait_alu 0xfffe
	s_or_b32 exec_lo, exec_lo, s1
	s_and_saveexec_b32 s1, s35
	s_cbranch_execz .LBB7_419
.LBB7_483:
	global_store_b32 v[0:1], v160, off offset:33792
	s_wait_alu 0xfffe
	s_or_b32 exec_lo, exec_lo, s1
	s_and_saveexec_b32 s1, s36
	s_cbranch_execz .LBB7_420
.LBB7_484:
	global_store_b32 v[0:1], v159, off offset:34816
	s_wait_alu 0xfffe
	s_or_b32 exec_lo, exec_lo, s1
	s_and_saveexec_b32 s1, s37
	s_cbranch_execz .LBB7_421
.LBB7_485:
	global_store_b32 v[0:1], v158, off offset:35840
	s_wait_alu 0xfffe
	s_or_b32 exec_lo, exec_lo, s1
	s_and_saveexec_b32 s1, s38
	s_cbranch_execz .LBB7_422
.LBB7_486:
	global_store_b32 v[0:1], v157, off offset:36864
	s_wait_alu 0xfffe
	s_or_b32 exec_lo, exec_lo, s1
	s_and_saveexec_b32 s1, s39
	s_cbranch_execz .LBB7_423
.LBB7_487:
	global_store_b32 v[0:1], v156, off offset:37888
	s_wait_alu 0xfffe
	s_or_b32 exec_lo, exec_lo, s1
	s_and_saveexec_b32 s1, s40
	s_cbranch_execz .LBB7_424
.LBB7_488:
	global_store_b32 v[0:1], v155, off offset:38912
	s_wait_alu 0xfffe
	s_or_b32 exec_lo, exec_lo, s1
	s_and_saveexec_b32 s1, s41
	s_cbranch_execz .LBB7_425
.LBB7_489:
	global_store_b32 v[0:1], v154, off offset:39936
	s_wait_alu 0xfffe
	s_or_b32 exec_lo, exec_lo, s1
	s_and_saveexec_b32 s1, s42
	s_cbranch_execz .LBB7_426
.LBB7_490:
	global_store_b32 v[0:1], v153, off offset:40960
	s_wait_alu 0xfffe
	s_or_b32 exec_lo, exec_lo, s1
	s_and_saveexec_b32 s1, s43
	s_cbranch_execz .LBB7_427
.LBB7_491:
	global_store_b32 v[0:1], v152, off offset:41984
	s_wait_alu 0xfffe
	s_or_b32 exec_lo, exec_lo, s1
	s_and_saveexec_b32 s1, s44
	s_cbranch_execz .LBB7_428
.LBB7_492:
	global_store_b32 v[0:1], v151, off offset:43008
	s_wait_alu 0xfffe
	s_or_b32 exec_lo, exec_lo, s1
	s_and_saveexec_b32 s1, s45
	s_cbranch_execz .LBB7_429
.LBB7_493:
	global_store_b32 v[0:1], v150, off offset:44032
	s_wait_alu 0xfffe
	s_or_b32 exec_lo, exec_lo, s1
	s_and_saveexec_b32 s1, s46
	s_cbranch_execz .LBB7_430
.LBB7_494:
	global_store_b32 v[0:1], v149, off offset:45056
	s_wait_alu 0xfffe
	s_or_b32 exec_lo, exec_lo, s1
	s_and_saveexec_b32 s1, s47
	s_cbranch_execz .LBB7_431
.LBB7_495:
	global_store_b32 v[0:1], v148, off offset:46080
	s_wait_alu 0xfffe
	s_or_b32 exec_lo, exec_lo, s1
	s_and_saveexec_b32 s1, s48
	s_cbranch_execz .LBB7_432
.LBB7_496:
	global_store_b32 v[0:1], v147, off offset:47104
	s_wait_alu 0xfffe
	s_or_b32 exec_lo, exec_lo, s1
	s_and_saveexec_b32 s1, s49
	s_cbranch_execz .LBB7_433
.LBB7_497:
	global_store_b32 v[0:1], v146, off offset:48128
	s_wait_alu 0xfffe
	s_or_b32 exec_lo, exec_lo, s1
	s_and_saveexec_b32 s1, s50
	s_cbranch_execz .LBB7_434
.LBB7_498:
	global_store_b32 v[0:1], v145, off offset:49152
	s_wait_alu 0xfffe
	s_or_b32 exec_lo, exec_lo, s1
	s_and_saveexec_b32 s1, s51
	s_cbranch_execz .LBB7_435
.LBB7_499:
	global_store_b32 v[0:1], v144, off offset:50176
	s_wait_alu 0xfffe
	s_or_b32 exec_lo, exec_lo, s1
	s_and_saveexec_b32 s1, s52
	s_cbranch_execz .LBB7_436
.LBB7_500:
	global_store_b32 v[0:1], v143, off offset:51200
	s_wait_alu 0xfffe
	s_or_b32 exec_lo, exec_lo, s1
	s_and_saveexec_b32 s1, s53
	s_cbranch_execz .LBB7_437
.LBB7_501:
	global_store_b32 v[0:1], v142, off offset:52224
	s_wait_alu 0xfffe
	s_or_b32 exec_lo, exec_lo, s1
	s_and_saveexec_b32 s1, s54
	s_cbranch_execz .LBB7_438
.LBB7_502:
	global_store_b32 v[0:1], v141, off offset:53248
	s_wait_alu 0xfffe
	s_or_b32 exec_lo, exec_lo, s1
	s_and_saveexec_b32 s1, s55
	s_cbranch_execz .LBB7_439
.LBB7_503:
	global_store_b32 v[0:1], v140, off offset:54272
	s_wait_alu 0xfffe
	s_or_b32 exec_lo, exec_lo, s1
	s_and_saveexec_b32 s1, s56
	s_cbranch_execz .LBB7_440
.LBB7_504:
	global_store_b32 v[0:1], v139, off offset:55296
	s_wait_alu 0xfffe
	s_or_b32 exec_lo, exec_lo, s1
	s_and_saveexec_b32 s1, s57
	s_cbranch_execz .LBB7_441
.LBB7_505:
	global_store_b32 v[0:1], v138, off offset:56320
	s_wait_alu 0xfffe
	s_or_b32 exec_lo, exec_lo, s1
	s_and_saveexec_b32 s1, s58
	s_cbranch_execz .LBB7_442
.LBB7_506:
	global_store_b32 v[0:1], v137, off offset:57344
	s_wait_alu 0xfffe
	s_or_b32 exec_lo, exec_lo, s1
	s_and_saveexec_b32 s1, s59
	s_cbranch_execz .LBB7_443
.LBB7_507:
	scratch_load_b32 v2, off, off offset:24 th:TH_LOAD_LU ; 4-byte Folded Reload
	s_wait_loadcnt 0x0
	global_store_b32 v[0:1], v2, off offset:58368
	s_wait_alu 0xfffe
	s_or_b32 exec_lo, exec_lo, s1
	s_and_saveexec_b32 s1, s60
	s_cbranch_execz .LBB7_444
.LBB7_508:
	scratch_load_b32 v2, off, off offset:20 th:TH_LOAD_LU ; 4-byte Folded Reload
	s_wait_loadcnt 0x0
	global_store_b32 v[0:1], v2, off offset:59392
	s_wait_alu 0xfffe
	s_or_b32 exec_lo, exec_lo, s1
	s_and_saveexec_b32 s1, s61
	s_cbranch_execz .LBB7_445
.LBB7_509:
	scratch_load_b32 v2, off, off offset:16 th:TH_LOAD_LU ; 4-byte Folded Reload
	s_wait_loadcnt 0x0
	global_store_b32 v[0:1], v2, off offset:60416
	s_wait_alu 0xfffe
	s_or_b32 exec_lo, exec_lo, s1
	s_and_saveexec_b32 s1, s62
	s_cbranch_execz .LBB7_446
.LBB7_510:
	scratch_load_b32 v2, off, off offset:12 th:TH_LOAD_LU ; 4-byte Folded Reload
	s_wait_loadcnt 0x0
	global_store_b32 v[0:1], v2, off offset:61440
	s_wait_alu 0xfffe
	s_or_b32 exec_lo, exec_lo, s1
	s_and_saveexec_b32 s1, s63
	s_cbranch_execz .LBB7_447
.LBB7_511:
	scratch_load_b32 v2, off, off offset:8 th:TH_LOAD_LU ; 4-byte Folded Reload
	s_wait_loadcnt 0x0
	global_store_b32 v[0:1], v2, off offset:62464
	s_wait_alu 0xfffe
	s_or_b32 exec_lo, exec_lo, s1
	s_and_saveexec_b32 s1, s64
	s_cbranch_execz .LBB7_448
.LBB7_512:
	scratch_load_b32 v2, off, off offset:4 th:TH_LOAD_LU ; 4-byte Folded Reload
	s_wait_loadcnt 0x0
	global_store_b32 v[0:1], v2, off offset:63488
	s_wait_alu 0xfffe
	s_or_b32 exec_lo, exec_lo, s1
	s_delay_alu instid0(SALU_CYCLE_1)
	s_and_b32 exec_lo, exec_lo, s0
	s_cbranch_execnz .LBB7_449
	s_branch .LBB7_450
	.section	.rodata,"a",@progbits
	.p2align	6, 0x0
	.amdhsa_kernel _Z10pnpoly_optILi64EEvPiPK15HIP_vector_typeIfLj2EES4_i
		.amdhsa_group_segment_fixed_size 0
		.amdhsa_private_segment_fixed_size 32
		.amdhsa_kernarg_size 28
		.amdhsa_user_sgpr_count 2
		.amdhsa_user_sgpr_dispatch_ptr 0
		.amdhsa_user_sgpr_queue_ptr 0
		.amdhsa_user_sgpr_kernarg_segment_ptr 1
		.amdhsa_user_sgpr_dispatch_id 0
		.amdhsa_user_sgpr_private_segment_size 0
		.amdhsa_wavefront_size32 1
		.amdhsa_uses_dynamic_stack 0
		.amdhsa_enable_private_segment 1
		.amdhsa_system_sgpr_workgroup_id_x 1
		.amdhsa_system_sgpr_workgroup_id_y 0
		.amdhsa_system_sgpr_workgroup_id_z 0
		.amdhsa_system_sgpr_workgroup_info 0
		.amdhsa_system_vgpr_workitem_id 0
		.amdhsa_next_free_vgpr 192
		.amdhsa_next_free_sgpr 76
		.amdhsa_reserve_vcc 1
		.amdhsa_float_round_mode_32 0
		.amdhsa_float_round_mode_16_64 0
		.amdhsa_float_denorm_mode_32 3
		.amdhsa_float_denorm_mode_16_64 3
		.amdhsa_fp16_overflow 0
		.amdhsa_workgroup_processor_mode 1
		.amdhsa_memory_ordered 1
		.amdhsa_forward_progress 1
		.amdhsa_inst_pref_size 98
		.amdhsa_round_robin_scheduling 0
		.amdhsa_exception_fp_ieee_invalid_op 0
		.amdhsa_exception_fp_denorm_src 0
		.amdhsa_exception_fp_ieee_div_zero 0
		.amdhsa_exception_fp_ieee_overflow 0
		.amdhsa_exception_fp_ieee_underflow 0
		.amdhsa_exception_fp_ieee_inexact 0
		.amdhsa_exception_int_div_zero 0
	.end_amdhsa_kernel
	.section	.text._Z10pnpoly_optILi64EEvPiPK15HIP_vector_typeIfLj2EES4_i,"axG",@progbits,_Z10pnpoly_optILi64EEvPiPK15HIP_vector_typeIfLj2EES4_i,comdat
.Lfunc_end7:
	.size	_Z10pnpoly_optILi64EEvPiPK15HIP_vector_typeIfLj2EES4_i, .Lfunc_end7-_Z10pnpoly_optILi64EEvPiPK15HIP_vector_typeIfLj2EES4_i
                                        ; -- End function
	.set _Z10pnpoly_optILi64EEvPiPK15HIP_vector_typeIfLj2EES4_i.num_vgpr, 192
	.set _Z10pnpoly_optILi64EEvPiPK15HIP_vector_typeIfLj2EES4_i.num_agpr, 0
	.set _Z10pnpoly_optILi64EEvPiPK15HIP_vector_typeIfLj2EES4_i.numbered_sgpr, 76
	.set _Z10pnpoly_optILi64EEvPiPK15HIP_vector_typeIfLj2EES4_i.num_named_barrier, 0
	.set _Z10pnpoly_optILi64EEvPiPK15HIP_vector_typeIfLj2EES4_i.private_seg_size, 32
	.set _Z10pnpoly_optILi64EEvPiPK15HIP_vector_typeIfLj2EES4_i.uses_vcc, 1
	.set _Z10pnpoly_optILi64EEvPiPK15HIP_vector_typeIfLj2EES4_i.uses_flat_scratch, 0
	.set _Z10pnpoly_optILi64EEvPiPK15HIP_vector_typeIfLj2EES4_i.has_dyn_sized_stack, 0
	.set _Z10pnpoly_optILi64EEvPiPK15HIP_vector_typeIfLj2EES4_i.has_recursion, 0
	.set _Z10pnpoly_optILi64EEvPiPK15HIP_vector_typeIfLj2EES4_i.has_indirect_call, 0
	.section	.AMDGPU.csdata,"",@progbits
; Kernel info:
; codeLenInByte = 12460
; TotalNumSgprs: 78
; NumVgprs: 192
; ScratchSize: 32
; MemoryBound: 0
; FloatMode: 240
; IeeeMode: 1
; LDSByteSize: 0 bytes/workgroup (compile time only)
; SGPRBlocks: 0
; VGPRBlocks: 23
; NumSGPRsForWavesPerEU: 78
; NumVGPRsForWavesPerEU: 192
; Occupancy: 8
; WaveLimiterHint : 0
; COMPUTE_PGM_RSRC2:SCRATCH_EN: 1
; COMPUTE_PGM_RSRC2:USER_SGPR: 2
; COMPUTE_PGM_RSRC2:TRAP_HANDLER: 0
; COMPUTE_PGM_RSRC2:TGID_X_EN: 1
; COMPUTE_PGM_RSRC2:TGID_Y_EN: 0
; COMPUTE_PGM_RSRC2:TGID_Z_EN: 0
; COMPUTE_PGM_RSRC2:TIDIG_COMP_CNT: 0
	.text
	.p2alignl 7, 3214868480
	.fill 96, 4, 3214868480
	.section	.AMDGPU.gpr_maximums,"",@progbits
	.set amdgpu.max_num_vgpr, 0
	.set amdgpu.max_num_agpr, 0
	.set amdgpu.max_num_sgpr, 0
	.text
	.type	__hip_cuid_fee776aca8eef2d0,@object ; @__hip_cuid_fee776aca8eef2d0
	.section	.bss,"aw",@nobits
	.globl	__hip_cuid_fee776aca8eef2d0
__hip_cuid_fee776aca8eef2d0:
	.byte	0                               ; 0x0
	.size	__hip_cuid_fee776aca8eef2d0, 1

	.ident	"AMD clang version 22.0.0git (https://github.com/RadeonOpenCompute/llvm-project roc-7.2.4 26084 f58b06dce1f9c15707c5f808fd002e18c2accf7e)"
	.section	".note.GNU-stack","",@progbits
	.addrsig
	.addrsig_sym __hip_cuid_fee776aca8eef2d0
	.amdgpu_metadata
---
amdhsa.kernels:
  - .args:
      - .actual_access:  write_only
        .address_space:  global
        .offset:         0
        .size:           8
        .value_kind:     global_buffer
      - .actual_access:  read_only
        .address_space:  global
        .offset:         8
        .size:           8
        .value_kind:     global_buffer
      - .actual_access:  read_only
        .address_space:  global
        .offset:         16
        .size:           8
        .value_kind:     global_buffer
      - .offset:         24
        .size:           4
        .value_kind:     by_value
      - .offset:         32
        .size:           4
        .value_kind:     hidden_block_count_x
      - .offset:         36
        .size:           4
        .value_kind:     hidden_block_count_y
      - .offset:         40
        .size:           4
        .value_kind:     hidden_block_count_z
      - .offset:         44
        .size:           2
        .value_kind:     hidden_group_size_x
      - .offset:         46
        .size:           2
        .value_kind:     hidden_group_size_y
      - .offset:         48
        .size:           2
        .value_kind:     hidden_group_size_z
      - .offset:         50
        .size:           2
        .value_kind:     hidden_remainder_x
      - .offset:         52
        .size:           2
        .value_kind:     hidden_remainder_y
      - .offset:         54
        .size:           2
        .value_kind:     hidden_remainder_z
      - .offset:         72
        .size:           8
        .value_kind:     hidden_global_offset_x
      - .offset:         80
        .size:           8
        .value_kind:     hidden_global_offset_y
      - .offset:         88
        .size:           8
        .value_kind:     hidden_global_offset_z
      - .offset:         96
        .size:           2
        .value_kind:     hidden_grid_dims
    .group_segment_fixed_size: 0
    .kernarg_segment_align: 8
    .kernarg_segment_size: 288
    .language:       OpenCL C
    .language_version:
      - 2
      - 0
    .max_flat_workgroup_size: 1024
    .name:           _Z11pnpoly_basePiPK15HIP_vector_typeIfLj2EES3_i
    .private_segment_fixed_size: 0
    .sgpr_count:     18
    .sgpr_spill_count: 0
    .symbol:         _Z11pnpoly_basePiPK15HIP_vector_typeIfLj2EES3_i.kd
    .uniform_work_group_size: 1
    .uses_dynamic_stack: false
    .vgpr_count:     10
    .vgpr_spill_count: 0
    .wavefront_size: 32
    .workgroup_processor_mode: 1
  - .args:
      - .actual_access:  write_only
        .address_space:  global
        .offset:         0
        .size:           8
        .value_kind:     global_buffer
      - .actual_access:  read_only
        .address_space:  global
        .offset:         8
        .size:           8
        .value_kind:     global_buffer
      - .actual_access:  read_only
        .address_space:  global
        .offset:         16
        .size:           8
        .value_kind:     global_buffer
      - .offset:         24
        .size:           4
        .value_kind:     by_value
    .group_segment_fixed_size: 0
    .kernarg_segment_align: 8
    .kernarg_segment_size: 28
    .language:       OpenCL C
    .language_version:
      - 2
      - 0
    .max_flat_workgroup_size: 1024
    .name:           _Z10pnpoly_optILi1EEvPiPK15HIP_vector_typeIfLj2EES4_i
    .private_segment_fixed_size: 0
    .sgpr_count:     38
    .sgpr_spill_count: 0
    .symbol:         _Z10pnpoly_optILi1EEvPiPK15HIP_vector_typeIfLj2EES4_i.kd
    .uniform_work_group_size: 1
    .uses_dynamic_stack: false
    .vgpr_count:     35
    .vgpr_spill_count: 0
    .wavefront_size: 32
    .workgroup_processor_mode: 1
  - .args:
      - .actual_access:  write_only
        .address_space:  global
        .offset:         0
        .size:           8
        .value_kind:     global_buffer
      - .actual_access:  read_only
        .address_space:  global
        .offset:         8
        .size:           8
        .value_kind:     global_buffer
      - .actual_access:  read_only
        .address_space:  global
        .offset:         16
        .size:           8
        .value_kind:     global_buffer
      - .offset:         24
        .size:           4
        .value_kind:     by_value
    .group_segment_fixed_size: 0
    .kernarg_segment_align: 8
    .kernarg_segment_size: 28
    .language:       OpenCL C
    .language_version:
      - 2
      - 0
    .max_flat_workgroup_size: 1024
    .name:           _Z10pnpoly_optILi2EEvPiPK15HIP_vector_typeIfLj2EES4_i
    .private_segment_fixed_size: 0
    .sgpr_count:     17
    .sgpr_spill_count: 0
    .symbol:         _Z10pnpoly_optILi2EEvPiPK15HIP_vector_typeIfLj2EES4_i.kd
    .uniform_work_group_size: 1
    .uses_dynamic_stack: false
    .vgpr_count:     13
    .vgpr_spill_count: 0
    .wavefront_size: 32
    .workgroup_processor_mode: 1
  - .args:
      - .actual_access:  write_only
        .address_space:  global
        .offset:         0
        .size:           8
        .value_kind:     global_buffer
      - .actual_access:  read_only
        .address_space:  global
        .offset:         8
        .size:           8
        .value_kind:     global_buffer
      - .actual_access:  read_only
        .address_space:  global
        .offset:         16
        .size:           8
        .value_kind:     global_buffer
      - .offset:         24
        .size:           4
        .value_kind:     by_value
    .group_segment_fixed_size: 0
    .kernarg_segment_align: 8
    .kernarg_segment_size: 28
    .language:       OpenCL C
    .language_version:
      - 2
      - 0
    .max_flat_workgroup_size: 1024
    .name:           _Z10pnpoly_optILi4EEvPiPK15HIP_vector_typeIfLj2EES4_i
    .private_segment_fixed_size: 0
    .sgpr_count:     18
    .sgpr_spill_count: 0
    .symbol:         _Z10pnpoly_optILi4EEvPiPK15HIP_vector_typeIfLj2EES4_i.kd
    .uniform_work_group_size: 1
    .uses_dynamic_stack: false
    .vgpr_count:     19
    .vgpr_spill_count: 0
    .wavefront_size: 32
    .workgroup_processor_mode: 1
  - .args:
      - .actual_access:  write_only
        .address_space:  global
        .offset:         0
        .size:           8
        .value_kind:     global_buffer
      - .actual_access:  read_only
        .address_space:  global
        .offset:         8
        .size:           8
        .value_kind:     global_buffer
      - .actual_access:  read_only
        .address_space:  global
        .offset:         16
        .size:           8
        .value_kind:     global_buffer
      - .offset:         24
        .size:           4
        .value_kind:     by_value
    .group_segment_fixed_size: 0
    .kernarg_segment_align: 8
    .kernarg_segment_size: 28
    .language:       OpenCL C
    .language_version:
      - 2
      - 0
    .max_flat_workgroup_size: 1024
    .name:           _Z10pnpoly_optILi8EEvPiPK15HIP_vector_typeIfLj2EES4_i
    .private_segment_fixed_size: 0
    .sgpr_count:     22
    .sgpr_spill_count: 0
    .symbol:         _Z10pnpoly_optILi8EEvPiPK15HIP_vector_typeIfLj2EES4_i.kd
    .uniform_work_group_size: 1
    .uses_dynamic_stack: false
    .vgpr_count:     31
    .vgpr_spill_count: 0
    .wavefront_size: 32
    .workgroup_processor_mode: 1
  - .args:
      - .actual_access:  write_only
        .address_space:  global
        .offset:         0
        .size:           8
        .value_kind:     global_buffer
      - .actual_access:  read_only
        .address_space:  global
        .offset:         8
        .size:           8
        .value_kind:     global_buffer
      - .actual_access:  read_only
        .address_space:  global
        .offset:         16
        .size:           8
        .value_kind:     global_buffer
      - .offset:         24
        .size:           4
        .value_kind:     by_value
    .group_segment_fixed_size: 0
    .kernarg_segment_align: 8
    .kernarg_segment_size: 28
    .language:       OpenCL C
    .language_version:
      - 2
      - 0
    .max_flat_workgroup_size: 1024
    .name:           _Z10pnpoly_optILi16EEvPiPK15HIP_vector_typeIfLj2EES4_i
    .private_segment_fixed_size: 0
    .sgpr_count:     30
    .sgpr_spill_count: 0
    .symbol:         _Z10pnpoly_optILi16EEvPiPK15HIP_vector_typeIfLj2EES4_i.kd
    .uniform_work_group_size: 1
    .uses_dynamic_stack: false
    .vgpr_count:     55
    .vgpr_spill_count: 0
    .wavefront_size: 32
    .workgroup_processor_mode: 1
  - .args:
      - .actual_access:  write_only
        .address_space:  global
        .offset:         0
        .size:           8
        .value_kind:     global_buffer
      - .actual_access:  read_only
        .address_space:  global
        .offset:         8
        .size:           8
        .value_kind:     global_buffer
      - .actual_access:  read_only
        .address_space:  global
        .offset:         16
        .size:           8
        .value_kind:     global_buffer
      - .offset:         24
        .size:           4
        .value_kind:     by_value
    .group_segment_fixed_size: 0
    .kernarg_segment_align: 8
    .kernarg_segment_size: 28
    .language:       OpenCL C
    .language_version:
      - 2
      - 0
    .max_flat_workgroup_size: 1024
    .name:           _Z10pnpoly_optILi32EEvPiPK15HIP_vector_typeIfLj2EES4_i
    .private_segment_fixed_size: 0
    .sgpr_count:     48
    .sgpr_spill_count: 0
    .symbol:         _Z10pnpoly_optILi32EEvPiPK15HIP_vector_typeIfLj2EES4_i.kd
    .uniform_work_group_size: 1
    .uses_dynamic_stack: false
    .vgpr_count:     103
    .vgpr_spill_count: 0
    .wavefront_size: 32
    .workgroup_processor_mode: 1
  - .args:
      - .actual_access:  write_only
        .address_space:  global
        .offset:         0
        .size:           8
        .value_kind:     global_buffer
      - .actual_access:  read_only
        .address_space:  global
        .offset:         8
        .size:           8
        .value_kind:     global_buffer
      - .actual_access:  read_only
        .address_space:  global
        .offset:         16
        .size:           8
        .value_kind:     global_buffer
      - .offset:         24
        .size:           4
        .value_kind:     by_value
    .group_segment_fixed_size: 0
    .kernarg_segment_align: 8
    .kernarg_segment_size: 28
    .language:       OpenCL C
    .language_version:
      - 2
      - 0
    .max_flat_workgroup_size: 1024
    .name:           _Z10pnpoly_optILi64EEvPiPK15HIP_vector_typeIfLj2EES4_i
    .private_segment_fixed_size: 32
    .sgpr_count:     78
    .sgpr_spill_count: 0
    .symbol:         _Z10pnpoly_optILi64EEvPiPK15HIP_vector_typeIfLj2EES4_i.kd
    .uniform_work_group_size: 1
    .uses_dynamic_stack: false
    .vgpr_count:     192
    .vgpr_spill_count: 14
    .wavefront_size: 32
    .workgroup_processor_mode: 1
amdhsa.target:   amdgcn-amd-amdhsa--gfx1201
amdhsa.version:
  - 1
  - 2
...

	.end_amdgpu_metadata
